;; amdgpu-corpus repo=ROCm/rocFFT kind=compiled arch=gfx906 opt=O3
	.text
	.amdgcn_target "amdgcn-amd-amdhsa--gfx906"
	.amdhsa_code_object_version 6
	.protected	fft_rtc_back_len2040_factors_17_4_3_10_wgs_170_tpt_170_halfLds_dp_op_CI_CI_unitstride_sbrr_R2C_dirReg ; -- Begin function fft_rtc_back_len2040_factors_17_4_3_10_wgs_170_tpt_170_halfLds_dp_op_CI_CI_unitstride_sbrr_R2C_dirReg
	.globl	fft_rtc_back_len2040_factors_17_4_3_10_wgs_170_tpt_170_halfLds_dp_op_CI_CI_unitstride_sbrr_R2C_dirReg
	.p2align	8
	.type	fft_rtc_back_len2040_factors_17_4_3_10_wgs_170_tpt_170_halfLds_dp_op_CI_CI_unitstride_sbrr_R2C_dirReg,@function
fft_rtc_back_len2040_factors_17_4_3_10_wgs_170_tpt_170_halfLds_dp_op_CI_CI_unitstride_sbrr_R2C_dirReg: ; @fft_rtc_back_len2040_factors_17_4_3_10_wgs_170_tpt_170_halfLds_dp_op_CI_CI_unitstride_sbrr_R2C_dirReg
; %bb.0:
	s_load_dwordx4 s[8:11], s[4:5], 0x58
	s_load_dwordx4 s[12:15], s[4:5], 0x0
	;; [unrolled: 1-line block ×3, first 2 shown]
	s_mov_b64 s[62:63], s[2:3]
	s_mov_b64 s[60:61], s[0:1]
	v_mul_u32_u24_e32 v1, 0x182, v0
	s_waitcnt lgkmcnt(0)
	v_cmp_lt_u64_e64 s[0:1], s[14:15], 2
	s_add_u32 s60, s60, s7
	v_add_u32_sdwa v5, s6, v1 dst_sel:DWORD dst_unused:UNUSED_PAD src0_sel:DWORD src1_sel:WORD_1
	v_mov_b32_e32 v3, 0
	v_mov_b32_e32 v1, 0
	s_addc_u32 s61, s61, 0
	v_mov_b32_e32 v6, v3
	s_and_b64 vcc, exec, s[0:1]
	v_mov_b32_e32 v2, 0
	s_cbranch_vccnz .LBB0_8
; %bb.1:
	s_load_dwordx2 s[0:1], s[4:5], 0x10
	s_add_u32 s2, s18, 8
	s_addc_u32 s3, s19, 0
	s_add_u32 s6, s16, 8
	v_mov_b32_e32 v1, 0
	s_addc_u32 s7, s17, 0
	v_mov_b32_e32 v2, 0
	s_waitcnt lgkmcnt(0)
	s_add_u32 s20, s0, 8
	v_mov_b32_e32 v97, v2
	s_addc_u32 s21, s1, 0
	s_mov_b64 s[22:23], 1
	v_mov_b32_e32 v96, v1
.LBB0_2:                                ; =>This Inner Loop Header: Depth=1
	s_load_dwordx2 s[24:25], s[20:21], 0x0
                                        ; implicit-def: $vgpr100_vgpr101
	s_waitcnt lgkmcnt(0)
	v_or_b32_e32 v4, s25, v6
	v_cmp_ne_u64_e32 vcc, 0, v[3:4]
	s_and_saveexec_b64 s[0:1], vcc
	s_xor_b64 s[26:27], exec, s[0:1]
	s_cbranch_execz .LBB0_4
; %bb.3:                                ;   in Loop: Header=BB0_2 Depth=1
	v_cvt_f32_u32_e32 v4, s24
	v_cvt_f32_u32_e32 v7, s25
	s_sub_u32 s0, 0, s24
	s_subb_u32 s1, 0, s25
	v_mac_f32_e32 v4, 0x4f800000, v7
	v_rcp_f32_e32 v4, v4
	v_mul_f32_e32 v4, 0x5f7ffffc, v4
	v_mul_f32_e32 v7, 0x2f800000, v4
	v_trunc_f32_e32 v7, v7
	v_mac_f32_e32 v4, 0xcf800000, v7
	v_cvt_u32_f32_e32 v7, v7
	v_cvt_u32_f32_e32 v4, v4
	v_mul_lo_u32 v8, s0, v7
	v_mul_hi_u32 v9, s0, v4
	v_mul_lo_u32 v11, s1, v4
	v_mul_lo_u32 v10, s0, v4
	v_add_u32_e32 v8, v9, v8
	v_add_u32_e32 v8, v8, v11
	v_mul_hi_u32 v9, v4, v10
	v_mul_lo_u32 v11, v4, v8
	v_mul_hi_u32 v13, v4, v8
	v_mul_hi_u32 v12, v7, v10
	v_mul_lo_u32 v10, v7, v10
	v_mul_hi_u32 v14, v7, v8
	v_add_co_u32_e32 v9, vcc, v9, v11
	v_addc_co_u32_e32 v11, vcc, 0, v13, vcc
	v_mul_lo_u32 v8, v7, v8
	v_add_co_u32_e32 v9, vcc, v9, v10
	v_addc_co_u32_e32 v9, vcc, v11, v12, vcc
	v_addc_co_u32_e32 v10, vcc, 0, v14, vcc
	v_add_co_u32_e32 v8, vcc, v9, v8
	v_addc_co_u32_e32 v9, vcc, 0, v10, vcc
	v_add_co_u32_e32 v4, vcc, v4, v8
	v_addc_co_u32_e32 v7, vcc, v7, v9, vcc
	v_mul_lo_u32 v8, s0, v7
	v_mul_hi_u32 v9, s0, v4
	v_mul_lo_u32 v10, s1, v4
	v_mul_lo_u32 v11, s0, v4
	v_add_u32_e32 v8, v9, v8
	v_add_u32_e32 v8, v8, v10
	v_mul_lo_u32 v12, v4, v8
	v_mul_hi_u32 v13, v4, v11
	v_mul_hi_u32 v14, v4, v8
	;; [unrolled: 1-line block ×3, first 2 shown]
	v_mul_lo_u32 v11, v7, v11
	v_mul_hi_u32 v9, v7, v8
	v_add_co_u32_e32 v12, vcc, v13, v12
	v_addc_co_u32_e32 v13, vcc, 0, v14, vcc
	v_mul_lo_u32 v8, v7, v8
	v_add_co_u32_e32 v11, vcc, v12, v11
	v_addc_co_u32_e32 v10, vcc, v13, v10, vcc
	v_addc_co_u32_e32 v9, vcc, 0, v9, vcc
	v_add_co_u32_e32 v8, vcc, v10, v8
	v_addc_co_u32_e32 v9, vcc, 0, v9, vcc
	v_add_co_u32_e32 v4, vcc, v4, v8
	v_addc_co_u32_e32 v9, vcc, v7, v9, vcc
	v_mad_u64_u32 v[7:8], s[0:1], v5, v9, 0
	v_mul_hi_u32 v10, v5, v4
	v_add_co_u32_e32 v11, vcc, v10, v7
	v_addc_co_u32_e32 v12, vcc, 0, v8, vcc
	v_mad_u64_u32 v[7:8], s[0:1], v6, v4, 0
	v_mad_u64_u32 v[9:10], s[0:1], v6, v9, 0
	v_add_co_u32_e32 v4, vcc, v11, v7
	v_addc_co_u32_e32 v4, vcc, v12, v8, vcc
	v_addc_co_u32_e32 v7, vcc, 0, v10, vcc
	v_add_co_u32_e32 v4, vcc, v4, v9
	v_addc_co_u32_e32 v9, vcc, 0, v7, vcc
	v_mul_lo_u32 v10, s25, v4
	v_mul_lo_u32 v11, s24, v9
	v_mad_u64_u32 v[7:8], s[0:1], s24, v4, 0
	v_add3_u32 v8, v8, v11, v10
	v_sub_u32_e32 v10, v6, v8
	v_mov_b32_e32 v11, s25
	v_sub_co_u32_e32 v7, vcc, v5, v7
	v_subb_co_u32_e64 v10, s[0:1], v10, v11, vcc
	v_subrev_co_u32_e64 v11, s[0:1], s24, v7
	v_subbrev_co_u32_e64 v10, s[0:1], 0, v10, s[0:1]
	v_cmp_le_u32_e64 s[0:1], s25, v10
	v_cndmask_b32_e64 v12, 0, -1, s[0:1]
	v_cmp_le_u32_e64 s[0:1], s24, v11
	v_cndmask_b32_e64 v11, 0, -1, s[0:1]
	v_cmp_eq_u32_e64 s[0:1], s25, v10
	v_cndmask_b32_e64 v10, v12, v11, s[0:1]
	v_add_co_u32_e64 v11, s[0:1], 2, v4
	v_addc_co_u32_e64 v12, s[0:1], 0, v9, s[0:1]
	v_add_co_u32_e64 v13, s[0:1], 1, v4
	v_addc_co_u32_e64 v14, s[0:1], 0, v9, s[0:1]
	v_subb_co_u32_e32 v8, vcc, v6, v8, vcc
	v_cmp_ne_u32_e64 s[0:1], 0, v10
	v_cmp_le_u32_e32 vcc, s25, v8
	v_cndmask_b32_e64 v10, v14, v12, s[0:1]
	v_cndmask_b32_e64 v12, 0, -1, vcc
	v_cmp_le_u32_e32 vcc, s24, v7
	v_cndmask_b32_e64 v7, 0, -1, vcc
	v_cmp_eq_u32_e32 vcc, s25, v8
	v_cndmask_b32_e32 v7, v12, v7, vcc
	v_cmp_ne_u32_e32 vcc, 0, v7
	v_cndmask_b32_e64 v7, v13, v11, s[0:1]
	v_cndmask_b32_e32 v101, v9, v10, vcc
	v_cndmask_b32_e32 v100, v4, v7, vcc
.LBB0_4:                                ;   in Loop: Header=BB0_2 Depth=1
	s_andn2_saveexec_b64 s[0:1], s[26:27]
	s_cbranch_execz .LBB0_6
; %bb.5:                                ;   in Loop: Header=BB0_2 Depth=1
	v_cvt_f32_u32_e32 v4, s24
	s_sub_i32 s26, 0, s24
	v_mov_b32_e32 v101, v3
	v_rcp_iflag_f32_e32 v4, v4
	v_mul_f32_e32 v4, 0x4f7ffffe, v4
	v_cvt_u32_f32_e32 v4, v4
	v_mul_lo_u32 v7, s26, v4
	v_mul_hi_u32 v7, v4, v7
	v_add_u32_e32 v4, v4, v7
	v_mul_hi_u32 v4, v5, v4
	v_mul_lo_u32 v7, v4, s24
	v_add_u32_e32 v8, 1, v4
	v_sub_u32_e32 v7, v5, v7
	v_subrev_u32_e32 v9, s24, v7
	v_cmp_le_u32_e32 vcc, s24, v7
	v_cndmask_b32_e32 v7, v7, v9, vcc
	v_cndmask_b32_e32 v4, v4, v8, vcc
	v_add_u32_e32 v8, 1, v4
	v_cmp_le_u32_e32 vcc, s24, v7
	v_cndmask_b32_e32 v100, v4, v8, vcc
.LBB0_6:                                ;   in Loop: Header=BB0_2 Depth=1
	s_or_b64 exec, exec, s[0:1]
	v_mul_lo_u32 v4, v101, s24
	v_mul_lo_u32 v9, v100, s25
	v_mad_u64_u32 v[7:8], s[0:1], v100, s24, 0
	s_load_dwordx2 s[0:1], s[6:7], 0x0
	s_load_dwordx2 s[24:25], s[2:3], 0x0
	v_add3_u32 v4, v8, v9, v4
	v_sub_co_u32_e32 v5, vcc, v5, v7
	v_subb_co_u32_e32 v4, vcc, v6, v4, vcc
	s_waitcnt lgkmcnt(0)
	v_mul_lo_u32 v6, s0, v4
	v_mul_lo_u32 v7, s1, v5
	v_mad_u64_u32 v[1:2], s[0:1], s0, v5, v[1:2]
	v_mul_lo_u32 v4, s24, v4
	v_mul_lo_u32 v8, s25, v5
	v_mad_u64_u32 v[96:97], s[0:1], s24, v5, v[96:97]
	s_add_u32 s22, s22, 1
	s_addc_u32 s23, s23, 0
	s_add_u32 s2, s2, 8
	v_add3_u32 v97, v8, v97, v4
	s_addc_u32 s3, s3, 0
	v_mov_b32_e32 v4, s14
	s_add_u32 s6, s6, 8
	v_mov_b32_e32 v5, s15
	s_addc_u32 s7, s7, 0
	v_cmp_ge_u64_e32 vcc, s[22:23], v[4:5]
	s_add_u32 s20, s20, 8
	v_add3_u32 v2, v7, v2, v6
	s_addc_u32 s21, s21, 0
	s_cbranch_vccnz .LBB0_9
; %bb.7:                                ;   in Loop: Header=BB0_2 Depth=1
	v_mov_b32_e32 v5, v100
	v_mov_b32_e32 v6, v101
	s_branch .LBB0_2
.LBB0_8:
	v_mov_b32_e32 v97, v2
	v_mov_b32_e32 v101, v6
	;; [unrolled: 1-line block ×4, first 2 shown]
.LBB0_9:
	s_load_dwordx2 s[4:5], s[4:5], 0x28
	s_lshl_b64 s[6:7], s[14:15], 3
	s_add_u32 s2, s18, s6
	s_addc_u32 s3, s19, s7
                                        ; implicit-def: $vgpr98
	s_waitcnt lgkmcnt(0)
	v_cmp_gt_u64_e64 s[0:1], s[4:5], v[100:101]
	v_cmp_le_u64_e32 vcc, s[4:5], v[100:101]
	s_and_saveexec_b64 s[4:5], vcc
	s_xor_b64 s[4:5], exec, s[4:5]
; %bb.10:
	s_mov_b32 s14, 0x1818182
	v_mul_hi_u32 v1, v0, s14
	v_mul_u32_u24_e32 v1, 0xaa, v1
	v_sub_u32_e32 v98, v0, v1
                                        ; implicit-def: $vgpr0
                                        ; implicit-def: $vgpr1_vgpr2
; %bb.11:
	s_andn2_saveexec_b64 s[4:5], s[4:5]
	s_cbranch_execz .LBB0_13
; %bb.12:
	s_add_u32 s6, s16, s6
	s_addc_u32 s7, s17, s7
	s_load_dwordx2 s[6:7], s[6:7], 0x0
	s_mov_b32 s14, 0x1818182
	v_mul_hi_u32 v5, v0, s14
	s_waitcnt lgkmcnt(0)
	v_mul_lo_u32 v6, s7, v100
	v_mul_lo_u32 v7, s6, v101
	v_mad_u64_u32 v[3:4], s[6:7], s6, v100, 0
	v_mul_u32_u24_e32 v5, 0xaa, v5
	v_sub_u32_e32 v98, v0, v5
	v_add3_u32 v4, v4, v7, v6
	v_lshlrev_b64 v[3:4], 4, v[3:4]
	v_mov_b32_e32 v0, s9
	v_add_co_u32_e32 v3, vcc, s8, v3
	v_addc_co_u32_e32 v4, vcc, v0, v4, vcc
	v_lshlrev_b64 v[0:1], 4, v[1:2]
	v_lshlrev_b32_e32 v52, 4, v98
	v_add_co_u32_e32 v0, vcc, v3, v0
	v_addc_co_u32_e32 v1, vcc, v4, v1, vcc
	v_add_co_u32_e32 v40, vcc, v0, v52
	v_addc_co_u32_e32 v41, vcc, 0, v1, vcc
	s_movk_i32 s6, 0x1000
	v_add_co_u32_e32 v16, vcc, s6, v40
	v_addc_co_u32_e32 v17, vcc, 0, v41, vcc
	s_movk_i32 s6, 0x2000
	;; [unrolled: 3-line block ×5, first 2 shown]
	v_add_co_u32_e32 v42, vcc, s6, v40
	v_addc_co_u32_e32 v43, vcc, 0, v41, vcc
	v_add_co_u32_e32 v48, vcc, 0x6000, v40
	v_addc_co_u32_e32 v49, vcc, 0, v41, vcc
	v_add_co_u32_e32 v50, vcc, 0x7000, v40
	global_load_dwordx4 v[0:3], v[40:41], off
	global_load_dwordx4 v[4:7], v[40:41], off offset:2720
	global_load_dwordx4 v[8:11], v[16:17], off offset:1344
	;; [unrolled: 1-line block ×3, first 2 shown]
	s_nop 0
	global_load_dwordx4 v[16:19], v[24:25], off offset:2688
	global_load_dwordx4 v[20:23], v[32:33], off offset:1312
	s_nop 0
	global_load_dwordx4 v[24:27], v[32:33], off offset:4032
	global_load_dwordx4 v[28:31], v[34:35], off offset:2656
	;; [unrolled: 3-line block ×3, first 2 shown]
	v_addc_co_u32_e32 v51, vcc, 0, v41, vcc
	global_load_dwordx4 v[40:43], v[48:49], off offset:2624
	global_load_dwordx4 v[44:47], v[50:51], off offset:1248
	v_add_u32_e32 v48, 0, v52
	s_waitcnt vmcnt(11)
	ds_write_b128 v48, v[0:3]
	s_waitcnt vmcnt(10)
	ds_write_b128 v48, v[4:7] offset:2720
	s_waitcnt vmcnt(9)
	ds_write_b128 v48, v[8:11] offset:5440
	;; [unrolled: 2-line block ×11, first 2 shown]
.LBB0_13:
	s_or_b64 exec, exec, s[4:5]
	v_lshl_add_u32 v216, v98, 4, 0
	s_waitcnt lgkmcnt(0)
	s_barrier
	ds_read_b128 v[20:23], v216 offset:30720
	ds_read_b128 v[60:63], v216 offset:1920
	ds_read_b128 v[28:31], v216
	ds_read_b128 v[24:27], v216 offset:28800
	ds_read_b128 v[68:71], v216 offset:3840
	s_mov_b32 s8, 0x75d4884
	s_mov_b32 s9, 0x3fe7a5f6
	s_waitcnt lgkmcnt(3)
	v_add_f64 v[146:147], v[62:63], v[22:23]
	ds_read_b128 v[56:59], v216 offset:5760
	ds_read_b128 v[32:35], v216 offset:26880
	s_waitcnt lgkmcnt(2)
	v_add_f64 v[154:155], v[70:71], -v[26:27]
	v_add_f64 v[150:151], v[70:71], v[26:27]
	s_mov_b32 s22, 0xeb564b22
	s_mov_b32 s20, 0x3259b75e
	;; [unrolled: 1-line block ×4, first 2 shown]
	v_mul_f64 v[10:11], v[146:147], s[8:9]
	s_waitcnt lgkmcnt(0)
	v_add_f64 v[166:167], v[58:59], -v[34:35]
	ds_read_b128 v[36:39], v216 offset:24960
	ds_read_b128 v[84:87], v216 offset:7680
	v_add_f64 v[170:171], v[58:59], v[34:35]
	ds_read_b128 v[76:79], v216 offset:9600
	ds_read_b128 v[40:43], v216 offset:23040
	ds_read_b128 v[44:47], v216 offset:21120
	ds_read_b128 v[52:55], v216 offset:11520
	ds_read_b128 v[48:51], v216 offset:13440
	ds_read_b128 v[64:67], v216 offset:19200
	ds_read_b128 v[80:83], v216 offset:15360
	ds_read_b128 v[72:75], v216 offset:17280
	v_mul_f64 v[12:13], v[154:155], s[22:23]
	buffer_store_dword v10, off, s[60:63], 0 offset:96 ; 4-byte Folded Spill
	s_nop 0
	buffer_store_dword v11, off, s[60:63], 0 offset:100 ; 4-byte Folded Spill
	v_mul_f64 v[14:15], v[150:151], s[20:21]
	s_mov_b32 s36, 0x6ed5f1bb
	s_mov_b32 s34, 0x6c9a05f6
	;; [unrolled: 1-line block ×4, first 2 shown]
	buffer_store_dword v12, off, s[60:63], 0 ; 4-byte Folded Spill
	s_nop 0
	buffer_store_dword v13, off, s[60:63], 0 offset:4 ; 4-byte Folded Spill
	buffer_store_dword v14, off, s[60:63], 0 offset:88 ; 4-byte Folded Spill
	s_nop 0
	buffer_store_dword v15, off, s[60:63], 0 offset:92 ; 4-byte Folded Spill
	v_mul_f64 v[16:17], v[166:167], s[34:35]
	v_mul_f64 v[18:19], v[170:171], s[36:37]
	buffer_store_dword v16, off, s[60:63], 0 offset:8 ; 4-byte Folded Spill
	s_nop 0
	buffer_store_dword v17, off, s[60:63], 0 offset:12 ; 4-byte Folded Spill
	buffer_store_dword v18, off, s[60:63], 0 offset:72 ; 4-byte Folded Spill
	s_nop 0
	buffer_store_dword v19, off, s[60:63], 0 offset:76 ; 4-byte Folded Spill
	v_add_f64 v[124:125], v[62:63], -v[22:23]
	s_mov_b32 s14, 0x2a9d6da3
	s_mov_b32 s15, 0xbfe58eea
	v_add_f64 v[108:109], v[60:61], v[20:21]
	v_add_f64 v[122:123], v[60:61], -v[20:21]
	v_add_f64 v[114:115], v[68:69], v[24:25]
	v_add_f64 v[132:133], v[68:69], -v[24:25]
	v_add_f64 v[128:129], v[56:57], v[32:33]
	v_mul_f64 v[254:255], v[124:125], s[14:15]
	s_waitcnt lgkmcnt(8)
	v_add_f64 v[194:195], v[86:87], -v[38:39]
	v_add_f64 v[142:143], v[56:57], -v[32:33]
	v_add_f64 v[188:189], v[86:87], v[38:39]
	s_mov_b32 s40, 0x7faef3
	s_mov_b32 s42, 0xacd6c6b4
	;; [unrolled: 1-line block ×4, first 2 shown]
	v_fma_f64 v[8:9], v[108:109], s[8:9], -v[254:255]
	v_add_f64 v[138:139], v[84:85], v[36:37]
	v_add_f64 v[140:141], v[84:85], -v[36:37]
	s_waitcnt lgkmcnt(6)
	v_add_f64 v[210:211], v[78:79], -v[42:43]
	v_add_f64 v[202:203], v[78:79], v[42:43]
	s_mov_b32 s28, 0x910ea3b9
	s_mov_b32 s38, 0x4363dd80
	;; [unrolled: 1-line block ×3, first 2 shown]
	v_add_f64 v[8:9], v[28:29], v[8:9]
	s_mov_b32 s39, 0x3fe0d888
	s_mov_b32 s6, 0x5d8e7cdc
	s_mov_b32 s7, 0xbfd71e95
	s_mov_b32 s16, 0x7c9e640b
	s_mov_b32 s18, 0x2b2883cd
	v_mul_f64 v[102:103], v[124:125], s[6:7]
	s_mov_b32 s17, 0xbfeca52d
	s_mov_b32 s19, 0x3fdc86fa
	v_mul_f64 v[88:89], v[124:125], s[16:17]
	v_mul_f64 v[90:91], v[146:147], s[18:19]
	s_mov_b32 s4, 0x370991
	s_mov_b32 s5, 0x3fedd6d0
	v_mul_f64 v[104:105], v[154:155], s[14:15]
	v_mul_f64 v[110:111], v[146:147], s[4:5]
	v_fma_f64 v[0:1], v[108:109], s[4:5], -v[102:103]
	v_mul_f64 v[219:220], v[150:151], s[8:9]
	v_mul_f64 v[112:113], v[166:167], s[16:17]
	;; [unrolled: 1-line block ×5, first 2 shown]
	v_fma_f64 v[2:3], v[114:115], s[8:9], -v[104:105]
	v_fma_f64 v[4:5], v[122:123], s[6:7], v[110:111]
	v_add_f64 v[0:1], v[28:29], v[0:1]
	s_mov_b32 s26, 0x923c349f
	v_fma_f64 v[6:7], v[128:129], s[18:19], -v[112:113]
	s_mov_b32 s24, 0xc61f0d01
	s_mov_b32 s27, 0xbfeec746
	;; [unrolled: 1-line block ×3, first 2 shown]
	v_add_f64 v[152:153], v[76:77], v[40:41]
	v_add_f64 v[4:5], v[30:31], v[4:5]
	;; [unrolled: 1-line block ×3, first 2 shown]
	v_fma_f64 v[2:3], v[132:133], s[14:15], v[219:220]
	v_mul_f64 v[227:228], v[210:211], s[26:27]
	v_add_f64 v[156:157], v[76:77], -v[40:41]
	v_fma_f64 v[10:11], v[122:123], s[14:15], v[10:11]
	v_mul_f64 v[229:230], v[202:203], s[24:25]
	s_waitcnt lgkmcnt(4)
	v_add_f64 v[234:235], v[54:55], -v[46:47]
	v_add_f64 v[232:233], v[54:55], v[46:47]
	v_add_f64 v[0:1], v[6:7], v[0:1]
	;; [unrolled: 1-line block ×3, first 2 shown]
	v_fma_f64 v[4:5], v[142:143], s[16:17], v[223:224]
	v_fma_f64 v[12:13], v[114:115], s[20:21], -v[12:13]
	v_add_f64 v[10:11], v[30:31], v[10:11]
	v_fma_f64 v[14:15], v[132:133], s[22:23], v[14:15]
	v_fma_f64 v[6:7], v[138:139], s[20:21], -v[221:222]
	v_add_f64 v[162:163], v[52:53], v[44:45]
	v_mul_f64 v[238:239], v[234:235], s[34:35]
	v_add_f64 v[164:165], v[52:53], -v[44:45]
	v_add_f64 v[2:3], v[4:5], v[2:3]
	v_add_f64 v[8:9], v[12:13], v[8:9]
	v_fma_f64 v[4:5], v[140:141], s[22:23], v[225:226]
	v_add_f64 v[10:11], v[14:15], v[10:11]
	v_fma_f64 v[12:13], v[128:129], s[36:37], -v[16:17]
	v_fma_f64 v[14:15], v[142:143], s[34:35], v[18:19]
	v_mul_f64 v[16:17], v[194:195], s[42:43]
	v_mul_f64 v[18:19], v[188:189], s[40:41]
	buffer_store_dword v16, off, s[60:63], 0 offset:16 ; 4-byte Folded Spill
	s_nop 0
	buffer_store_dword v17, off, s[60:63], 0 offset:20 ; 4-byte Folded Spill
	buffer_store_dword v18, off, s[60:63], 0 offset:64 ; 4-byte Folded Spill
	s_nop 0
	buffer_store_dword v19, off, s[60:63], 0 offset:68 ; 4-byte Folded Spill
	v_add_f64 v[8:9], v[12:13], v[8:9]
	v_add_f64 v[10:11], v[14:15], v[10:11]
	;; [unrolled: 1-line block ×4, first 2 shown]
	v_fma_f64 v[4:5], v[152:153], s[24:25], -v[227:228]
	v_fma_f64 v[6:7], v[156:157], s[26:27], v[229:230]
	v_mul_f64 v[242:243], v[232:233], s[36:37]
	s_waitcnt lgkmcnt(2)
	v_add_f64 v[240:241], v[50:51], -v[66:67]
	v_add_f64 v[236:237], v[50:51], v[66:67]
	s_mov_b32 s31, 0xbfe0d888
	s_mov_b32 s30, s38
	v_add_f64 v[174:175], v[48:49], v[64:65]
	v_add_f64 v[0:1], v[4:5], v[0:1]
	;; [unrolled: 1-line block ×3, first 2 shown]
	v_fma_f64 v[4:5], v[162:163], s[36:37], -v[238:239]
	v_fma_f64 v[6:7], v[164:165], s[34:35], v[242:243]
	v_mul_f64 v[244:245], v[240:241], s[30:31]
	v_add_f64 v[178:179], v[48:49], -v[64:65]
	v_mul_f64 v[246:247], v[236:237], s[28:29]
	s_waitcnt lgkmcnt(0)
	v_add_f64 v[106:107], v[82:83], -v[74:75]
	v_add_f64 v[252:253], v[82:83], v[74:75]
	v_add_f64 v[186:187], v[80:81], v[72:73]
	;; [unrolled: 1-line block ×4, first 2 shown]
	v_fma_f64 v[4:5], v[174:175], s[28:29], -v[244:245]
	v_add_f64 v[190:191], v[80:81], -v[72:73]
	v_fma_f64 v[6:7], v[178:179], s[30:31], v[246:247]
	v_mul_f64 v[248:249], v[106:107], s[42:43]
	v_mul_f64 v[250:251], v[252:253], s[40:41]
	s_mov_b32 s47, 0x3feec746
	s_mov_b32 s46, s26
	;; [unrolled: 1-line block ×3, first 2 shown]
	v_add_f64 v[0:1], v[4:5], v[0:1]
	s_mov_b32 s52, s42
	v_add_f64 v[2:3], v[6:7], v[2:3]
	v_fma_f64 v[4:5], v[186:187], s[40:41], -v[248:249]
	v_fma_f64 v[6:7], v[190:191], s[42:43], v[250:251]
	v_mul_f64 v[92:93], v[166:167], s[52:53]
	v_mul_f64 v[94:95], v[170:171], s[40:41]
	s_mov_b32 s49, 0x3feca52d
	s_mov_b32 s48, s16
	;; [unrolled: 1-line block ×4, first 2 shown]
	v_add_f64 v[0:1], v[4:5], v[0:1]
	v_add_f64 v[2:3], v[6:7], v[2:3]
	s_mov_b32 s51, 0x3fd71e95
	s_mov_b32 s50, s6
	v_mul_f64 v[118:119], v[124:125], s[22:23]
	v_mul_f64 v[134:135], v[146:147], s[20:21]
	;; [unrolled: 1-line block ×11, first 2 shown]
	s_mov_b32 s57, 0x3fe9895b
	s_mov_b32 s56, s34
	v_mul_f64 v[172:173], v[236:237], s[36:37]
	v_mul_f64 v[116:117], v[106:107], s[54:55]
	;; [unrolled: 1-line block ×11, first 2 shown]
	s_mov_b32 s59, 0x3fefdd0d
	s_mov_b32 s58, s22
	v_mul_f64 v[192:193], v[234:235], s[58:59]
	v_mul_f64 v[214:215], v[232:233], s[20:21]
	;; [unrolled: 1-line block ×4, first 2 shown]
	v_fma_f64 v[12:13], v[138:139], s[40:41], -v[16:17]
	v_fma_f64 v[14:15], v[140:141], s[42:43], v[18:19]
	v_mul_f64 v[16:17], v[210:211], s[38:39]
	v_mul_f64 v[18:19], v[202:203], s[28:29]
	buffer_store_dword v16, off, s[60:63], 0 offset:24 ; 4-byte Folded Spill
	s_nop 0
	buffer_store_dword v17, off, s[60:63], 0 offset:28 ; 4-byte Folded Spill
	buffer_store_dword v18, off, s[60:63], 0 offset:56 ; 4-byte Folded Spill
	s_nop 0
	buffer_store_dword v19, off, s[60:63], 0 offset:60 ; 4-byte Folded Spill
	;; [unrolled: 3-line block ×4, first 2 shown]
	v_add_f64 v[4:5], v[12:13], v[8:9]
	v_add_f64 v[6:7], v[14:15], v[10:11]
	s_movk_i32 s33, 0x78
	v_cmp_gt_u32_e32 vcc, s33, v98
	v_fma_f64 v[8:9], v[152:153], s[28:29], -v[16:17]
	v_fma_f64 v[10:11], v[156:157], s[38:39], v[18:19]
	v_mul_f64 v[16:17], v[154:155], s[34:35]
	v_mul_f64 v[18:19], v[150:151], s[36:37]
	v_fma_f64 v[12:13], v[108:109], s[18:19], -v[88:89]
	v_fma_f64 v[14:15], v[122:123], s[16:17], v[90:91]
	v_mul_f64 v[88:89], v[234:235], s[46:47]
	v_mul_f64 v[90:91], v[232:233], s[24:25]
	buffer_store_dword v16, off, s[60:63], 0 offset:160 ; 4-byte Folded Spill
	s_nop 0
	buffer_store_dword v17, off, s[60:63], 0 offset:164 ; 4-byte Folded Spill
	buffer_store_dword v18, off, s[60:63], 0 offset:200 ; 4-byte Folded Spill
	s_nop 0
	buffer_store_dword v19, off, s[60:63], 0 offset:204 ; 4-byte Folded Spill
	;; [unrolled: 3-line block ×6, first 2 shown]
	v_add_f64 v[12:13], v[28:29], v[12:13]
	v_add_f64 v[14:15], v[30:31], v[14:15]
	;; [unrolled: 1-line block ×4, first 2 shown]
	v_fma_f64 v[16:17], v[114:115], s[36:37], -v[16:17]
	v_fma_f64 v[18:19], v[132:133], s[34:35], v[18:19]
	v_fma_f64 v[8:9], v[162:163], s[24:25], -v[88:89]
	v_fma_f64 v[10:11], v[164:165], s[46:47], v[90:91]
	v_mul_f64 v[88:89], v[240:241], s[48:49]
	v_mul_f64 v[90:91], v[236:237], s[18:19]
	v_add_f64 v[12:13], v[16:17], v[12:13]
	v_add_f64 v[14:15], v[18:19], v[14:15]
	v_fma_f64 v[16:17], v[128:129], s[40:41], -v[92:93]
	v_fma_f64 v[18:19], v[142:143], s[52:53], v[94:95]
	v_mul_f64 v[92:93], v[194:195], s[46:47]
	v_mul_f64 v[94:95], v[188:189], s[24:25]
	buffer_store_dword v92, off, s[60:63], 0 offset:184 ; 4-byte Folded Spill
	s_nop 0
	buffer_store_dword v93, off, s[60:63], 0 offset:188 ; 4-byte Folded Spill
	buffer_store_dword v94, off, s[60:63], 0 offset:216 ; 4-byte Folded Spill
	s_nop 0
	buffer_store_dword v95, off, s[60:63], 0 offset:220 ; 4-byte Folded Spill
	v_add_f64 v[12:13], v[16:17], v[12:13]
	v_add_f64 v[14:15], v[18:19], v[14:15]
	buffer_store_dword v88, off, s[60:63], 0 offset:40 ; 4-byte Folded Spill
	s_nop 0
	buffer_store_dword v89, off, s[60:63], 0 offset:44 ; 4-byte Folded Spill
	buffer_store_dword v90, off, s[60:63], 0 offset:80 ; 4-byte Folded Spill
	s_nop 0
	buffer_store_dword v91, off, s[60:63], 0 offset:84 ; 4-byte Folded Spill
	v_add_f64 v[4:5], v[8:9], v[4:5]
	v_add_f64 v[6:7], v[10:11], v[6:7]
	v_fma_f64 v[16:17], v[138:139], s[24:25], -v[92:93]
	v_fma_f64 v[18:19], v[140:141], s[46:47], v[94:95]
	v_mul_f64 v[92:93], v[210:211], s[54:55]
	v_mul_f64 v[94:95], v[202:203], s[8:9]
	buffer_store_dword v92, off, s[60:63], 0 offset:144 ; 4-byte Folded Spill
	s_nop 0
	buffer_store_dword v93, off, s[60:63], 0 offset:148 ; 4-byte Folded Spill
	buffer_store_dword v94, off, s[60:63], 0 offset:240 ; 4-byte Folded Spill
	s_nop 0
	buffer_store_dword v95, off, s[60:63], 0 offset:244 ; 4-byte Folded Spill
	v_add_f64 v[12:13], v[16:17], v[12:13]
	v_add_f64 v[14:15], v[18:19], v[14:15]
	v_fma_f64 v[8:9], v[174:175], s[18:19], -v[88:89]
	v_fma_f64 v[10:11], v[178:179], s[48:49], v[90:91]
	v_mul_f64 v[88:89], v[106:107], s[50:51]
	v_mul_f64 v[90:91], v[252:253], s[4:5]
	v_add_f64 v[4:5], v[8:9], v[4:5]
	v_add_f64 v[6:7], v[10:11], v[6:7]
	v_fma_f64 v[16:17], v[152:153], s[8:9], -v[92:93]
	v_fma_f64 v[18:19], v[156:157], s[54:55], v[94:95]
	v_mul_f64 v[92:93], v[234:235], s[6:7]
	v_mul_f64 v[94:95], v[232:233], s[4:5]
	buffer_store_dword v92, off, s[60:63], 0 offset:120 ; 4-byte Folded Spill
	s_nop 0
	buffer_store_dword v93, off, s[60:63], 0 offset:124 ; 4-byte Folded Spill
	buffer_store_dword v94, off, s[60:63], 0 offset:232 ; 4-byte Folded Spill
	s_nop 0
	buffer_store_dword v95, off, s[60:63], 0 offset:236 ; 4-byte Folded Spill
	;; [unrolled: 3-line block ×4, first 2 shown]
	v_add_f64 v[12:13], v[16:17], v[12:13]
	v_add_f64 v[14:15], v[18:19], v[14:15]
	v_fma_f64 v[16:17], v[162:163], s[4:5], -v[92:93]
	v_fma_f64 v[18:19], v[164:165], s[6:7], v[94:95]
	v_mul_f64 v[92:93], v[240:241], s[22:23]
	v_mul_f64 v[94:95], v[236:237], s[20:21]
	v_fma_f64 v[8:9], v[186:187], s[4:5], -v[88:89]
	v_fma_f64 v[10:11], v[190:191], s[50:51], v[90:91]
	buffer_store_dword v92, off, s[60:63], 0 offset:128 ; 4-byte Folded Spill
	s_nop 0
	buffer_store_dword v93, off, s[60:63], 0 offset:132 ; 4-byte Folded Spill
	buffer_store_dword v94, off, s[60:63], 0 offset:224 ; 4-byte Folded Spill
	s_nop 0
	buffer_store_dword v95, off, s[60:63], 0 offset:228 ; 4-byte Folded Spill
	v_mul_f64 v[88:89], v[106:107], s[30:31]
	v_mul_f64 v[90:91], v[252:253], s[28:29]
	buffer_store_dword v88, off, s[60:63], 0 offset:136 ; 4-byte Folded Spill
	s_nop 0
	buffer_store_dword v89, off, s[60:63], 0 offset:140 ; 4-byte Folded Spill
	buffer_store_dword v90, off, s[60:63], 0 offset:152 ; 4-byte Folded Spill
	s_nop 0
	buffer_store_dword v91, off, s[60:63], 0 offset:156 ; 4-byte Folded Spill
	v_add_f64 v[14:15], v[18:19], v[14:15]
	v_add_f64 v[6:7], v[10:11], v[6:7]
	;; [unrolled: 1-line block ×4, first 2 shown]
	v_fma_f64 v[16:17], v[174:175], s[20:21], -v[92:93]
	v_fma_f64 v[18:19], v[178:179], s[22:23], v[94:95]
	v_add_f64 v[8:9], v[16:17], v[12:13]
	v_add_f64 v[10:11], v[18:19], v[14:15]
	v_fma_f64 v[12:13], v[186:187], s[28:29], -v[88:89]
	v_fma_f64 v[14:15], v[190:191], s[30:31], v[90:91]
	v_fma_f64 v[16:17], v[132:133], s[42:43], v[136:137]
	v_fma_f64 v[18:19], v[114:115], s[28:29], -v[182:183]
	v_fma_f64 v[88:89], v[132:133], s[38:39], v[204:205]
	v_add_f64 v[8:9], v[12:13], v[8:9]
	v_add_f64 v[10:11], v[14:15], v[10:11]
	v_mul_f64 v[14:15], v[154:155], s[42:43]
	buffer_store_dword v14, off, s[60:63], 0 offset:248 ; 4-byte Folded Spill
	s_nop 0
	buffer_store_dword v15, off, s[60:63], 0 offset:252 ; 4-byte Folded Spill
	v_fma_f64 v[12:13], v[108:109], s[20:21], -v[118:119]
	v_add_f64 v[12:13], v[28:29], v[12:13]
	v_fma_f64 v[14:15], v[114:115], s[40:41], -v[14:15]
	v_add_f64 v[12:13], v[14:15], v[12:13]
	v_fma_f64 v[14:15], v[122:123], s[22:23], v[134:135]
	v_add_f64 v[14:15], v[30:31], v[14:15]
	v_add_f64 v[14:15], v[16:17], v[14:15]
	v_fma_f64 v[16:17], v[128:129], s[24:25], -v[126:127]
	v_add_f64 v[12:13], v[16:17], v[12:13]
	v_fma_f64 v[16:17], v[142:143], s[46:47], v[158:159]
	v_add_f64 v[14:15], v[16:17], v[14:15]
	v_fma_f64 v[16:17], v[138:139], s[4:5], -v[120:121]
	v_add_f64 v[12:13], v[16:17], v[12:13]
	v_fma_f64 v[16:17], v[140:141], s[50:51], v[148:149]
	;; [unrolled: 4-line block ×4, first 2 shown]
	v_add_f64 v[14:15], v[16:17], v[14:15]
	v_mul_f64 v[16:17], v[240:241], s[56:57]
	buffer_store_dword v16, off, s[60:63], 0 offset:256 ; 4-byte Folded Spill
	s_nop 0
	buffer_store_dword v17, off, s[60:63], 0 offset:260 ; 4-byte Folded Spill
	s_waitcnt vmcnt(0)
	s_barrier
	v_fma_f64 v[16:17], v[174:175], s[36:37], -v[16:17]
	v_add_f64 v[12:13], v[16:17], v[12:13]
	v_fma_f64 v[16:17], v[178:179], s[56:57], v[172:173]
	v_add_f64 v[14:15], v[16:17], v[14:15]
	v_fma_f64 v[16:17], v[186:187], s[8:9], -v[116:117]
	v_add_f64 v[12:13], v[16:17], v[12:13]
	v_fma_f64 v[16:17], v[190:191], s[54:55], v[176:177]
	v_add_f64 v[14:15], v[16:17], v[14:15]
	v_fma_f64 v[16:17], v[108:109], s[24:25], -v[180:181]
	v_add_f64 v[16:17], v[28:29], v[16:17]
	v_add_f64 v[16:17], v[18:19], v[16:17]
	v_fma_f64 v[18:19], v[122:123], s[26:27], v[200:201]
	v_add_f64 v[18:19], v[30:31], v[18:19]
	v_add_f64 v[18:19], v[88:89], v[18:19]
	v_mul_f64 v[88:89], v[166:167], s[54:55]
	v_fma_f64 v[90:91], v[128:129], s[8:9], -v[88:89]
	v_add_f64 v[16:17], v[90:91], v[16:17]
	v_fma_f64 v[90:91], v[142:143], s[54:55], v[208:209]
	v_add_f64 v[18:19], v[90:91], v[18:19]
	v_fma_f64 v[90:91], v[138:139], s[18:19], -v[184:185]
	v_add_f64 v[16:17], v[90:91], v[16:17]
	v_fma_f64 v[90:91], v[140:141], s[16:17], v[206:207]
	v_add_f64 v[18:19], v[90:91], v[18:19]
	v_mul_f64 v[90:91], v[210:211], s[42:43]
	v_fma_f64 v[92:93], v[152:153], s[40:41], -v[90:91]
	v_add_f64 v[16:17], v[92:93], v[16:17]
	v_fma_f64 v[92:93], v[156:157], s[42:43], v[212:213]
	v_add_f64 v[18:19], v[92:93], v[18:19]
	v_fma_f64 v[92:93], v[162:163], s[20:21], -v[192:193]
	v_add_f64 v[16:17], v[92:93], v[16:17]
	v_fma_f64 v[92:93], v[164:165], s[58:59], v[214:215]
	v_add_f64 v[18:19], v[92:93], v[18:19]
	v_fma_f64 v[92:93], v[174:175], s[4:5], -v[196:197]
	v_add_f64 v[16:17], v[92:93], v[16:17]
	v_mul_f64 v[92:93], v[236:237], s[4:5]
	v_fma_f64 v[94:95], v[178:179], s[6:7], v[92:93]
	v_add_f64 v[18:19], v[94:95], v[18:19]
	v_fma_f64 v[94:95], v[186:187], s[36:37], -v[198:199]
	v_add_f64 v[16:17], v[94:95], v[16:17]
	v_mul_f64 v[94:95], v[252:253], s[36:37]
	v_fma_f64 v[217:218], v[190:191], s[34:35], v[94:95]
	v_add_f64 v[18:19], v[217:218], v[18:19]
	s_and_saveexec_b64 s[44:45], vcc
	s_cbranch_execz .LBB0_15
; %bb.14:
	v_mul_f64 v[217:218], v[122:123], s[42:43]
	buffer_store_dword v219, off, s[60:63], 0 offset:312 ; 4-byte Folded Spill
	s_nop 0
	buffer_store_dword v220, off, s[60:63], 0 offset:316 ; 4-byte Folded Spill
	buffer_store_dword v221, off, s[60:63], 0 offset:280 ; 4-byte Folded Spill
	s_nop 0
	buffer_store_dword v222, off, s[60:63], 0 offset:284 ; 4-byte Folded Spill
	v_mul_f64 v[221:222], v[132:133], s[50:51]
	buffer_store_dword v223, off, s[60:63], 0 offset:288 ; 4-byte Folded Spill
	s_nop 0
	buffer_store_dword v224, off, s[60:63], 0 offset:292 ; 4-byte Folded Spill
	buffer_store_dword v225, off, s[60:63], 0 offset:384 ; 4-byte Folded Spill
	s_nop 0
	buffer_store_dword v226, off, s[60:63], 0 offset:388 ; 4-byte Folded Spill
	;; [unrolled: 3-line block ×3, first 2 shown]
	v_mul_f64 v[227:228], v[154:155], s[50:51]
	v_fma_f64 v[219:220], v[146:147], s[40:41], v[217:218]
	buffer_store_dword v229, off, s[60:63], 0 offset:360 ; 4-byte Folded Spill
	s_nop 0
	buffer_store_dword v230, off, s[60:63], 0 offset:364 ; 4-byte Folded Spill
	buffer_store_dword v238, off, s[60:63], 0 offset:320 ; 4-byte Folded Spill
	s_nop 0
	buffer_store_dword v239, off, s[60:63], 0 offset:324 ; 4-byte Folded Spill
	v_fma_f64 v[223:224], v[150:151], s[4:5], v[221:222]
	buffer_store_dword v242, off, s[60:63], 0 offset:352 ; 4-byte Folded Spill
	s_nop 0
	buffer_store_dword v243, off, s[60:63], 0 offset:356 ; 4-byte Folded Spill
	buffer_store_dword v244, off, s[60:63], 0 offset:304 ; 4-byte Folded Spill
	s_nop 0
	buffer_store_dword v245, off, s[60:63], 0 offset:308 ; 4-byte Folded Spill
	;; [unrolled: 3-line block ×3, first 2 shown]
	v_fma_f64 v[229:230], v[114:115], s[4:5], -v[227:228]
	v_add_f64 v[219:220], v[30:31], v[219:220]
	buffer_store_dword v248, off, s[60:63], 0 offset:296 ; 4-byte Folded Spill
	s_nop 0
	buffer_store_dword v249, off, s[60:63], 0 offset:300 ; 4-byte Folded Spill
	buffer_store_dword v250, off, s[60:63], 0 offset:328 ; 4-byte Folded Spill
	s_nop 0
	buffer_store_dword v251, off, s[60:63], 0 offset:332 ; 4-byte Folded Spill
	;; [unrolled: 3-line block ×7, first 2 shown]
	v_add_f64 v[219:220], v[223:224], v[219:220]
	v_mul_f64 v[223:224], v[124:125], s[42:43]
	buffer_store_dword v118, off, s[60:63], 0 offset:440 ; 4-byte Folded Spill
	s_nop 0
	buffer_store_dword v119, off, s[60:63], 0 offset:444 ; 4-byte Folded Spill
	buffer_store_dword v116, off, s[60:63], 0 offset:432 ; 4-byte Folded Spill
	s_nop 0
	buffer_store_dword v117, off, s[60:63], 0 offset:436 ; 4-byte Folded Spill
	v_add_f64 v[60:61], v[28:29], v[60:61]
	v_add_f64 v[62:63], v[30:31], v[62:63]
	v_fma_f64 v[225:226], v[108:109], s[40:41], -v[223:224]
	v_add_f64 v[68:69], v[60:61], v[68:69]
	v_add_f64 v[70:71], v[62:63], v[70:71]
	;; [unrolled: 1-line block ×6, first 2 shown]
	v_mul_f64 v[229:230], v[142:143], s[30:31]
	v_add_f64 v[84:85], v[68:69], v[84:85]
	v_add_f64 v[86:87], v[70:71], v[86:87]
	v_fma_f64 v[238:239], v[170:171], s[28:29], v[229:230]
	v_add_f64 v[78:79], v[86:87], v[78:79]
	v_add_f64 v[86:87], v[84:85], v[76:77]
	v_add_f64 v[219:220], v[238:239], v[219:220]
	v_mul_f64 v[238:239], v[166:167], s[30:31]
	v_add_f64 v[54:55], v[78:79], v[54:55]
	v_add_f64 v[52:53], v[86:87], v[52:53]
	v_fma_f64 v[242:243], v[128:129], s[28:29], -v[238:239]
	v_add_f64 v[50:51], v[54:55], v[50:51]
	v_add_f64 v[48:49], v[52:53], v[48:49]
	v_add_f64 v[225:226], v[242:243], v[225:226]
	v_mul_f64 v[242:243], v[140:141], s[54:55]
	v_add_f64 v[50:51], v[50:51], v[82:83]
	v_add_f64 v[48:49], v[48:49], v[80:81]
	v_fma_f64 v[244:245], v[188:189], s[8:9], v[242:243]
	v_add_f64 v[50:51], v[50:51], v[74:75]
	v_add_f64 v[48:49], v[48:49], v[72:73]
	v_add_f64 v[219:220], v[244:245], v[219:220]
	v_mul_f64 v[244:245], v[194:195], s[54:55]
	v_add_f64 v[50:51], v[50:51], v[66:67]
	v_add_f64 v[48:49], v[48:49], v[64:65]
	v_fma_f64 v[246:247], v[138:139], s[8:9], -v[244:245]
	v_add_f64 v[46:47], v[50:51], v[46:47]
	v_add_f64 v[44:45], v[48:49], v[44:45]
	v_add_f64 v[225:226], v[246:247], v[225:226]
	v_mul_f64 v[246:247], v[156:157], s[34:35]
	v_add_f64 v[42:43], v[46:47], v[42:43]
	v_add_f64 v[40:41], v[44:45], v[40:41]
	v_fma_f64 v[248:249], v[202:203], s[36:37], v[246:247]
	v_add_f64 v[38:39], v[42:43], v[38:39]
	v_add_f64 v[36:37], v[40:41], v[36:37]
	v_add_f64 v[219:220], v[248:249], v[219:220]
	v_mul_f64 v[248:249], v[210:211], s[34:35]
	v_add_f64 v[34:35], v[38:39], v[34:35]
	v_add_f64 v[32:33], v[36:37], v[32:33]
	v_fma_f64 v[250:251], v[152:153], s[36:37], -v[248:249]
	v_add_f64 v[26:27], v[34:35], v[26:27]
	v_add_f64 v[34:35], v[32:33], v[24:25]
	v_add_f64 v[225:226], v[250:251], v[225:226]
	v_mul_f64 v[250:251], v[164:165], s[48:49]
	v_add_f64 v[34:35], v[34:35], v[20:21]
	v_lshl_add_u32 v20, v98, 8, v216
	v_fma_f64 v[254:255], v[232:233], s[18:19], v[250:251]
	v_add_f64 v[219:220], v[254:255], v[219:220]
	v_mul_f64 v[254:255], v[234:235], s[48:49]
	v_fma_f64 v[102:103], v[162:163], s[18:19], -v[254:255]
	v_add_f64 v[102:103], v[102:103], v[225:226]
	v_mul_f64 v[225:226], v[178:179], s[26:27]
	v_fma_f64 v[104:105], v[236:237], s[24:25], v[225:226]
	v_add_f64 v[104:105], v[104:105], v[219:220]
	v_mul_f64 v[219:220], v[240:241], s[26:27]
	v_fma_f64 v[110:111], v[174:175], s[24:25], -v[219:220]
	v_add_f64 v[102:103], v[110:111], v[102:103]
	v_mul_f64 v[110:111], v[190:191], s[58:59]
	v_fma_f64 v[112:113], v[252:253], s[20:21], v[110:111]
	v_fma_f64 v[110:111], v[252:253], s[20:21], -v[110:111]
	v_add_f64 v[118:119], v[112:113], v[104:105]
	v_mul_f64 v[104:105], v[106:107], s[58:59]
	v_fma_f64 v[112:113], v[186:187], s[20:21], -v[104:105]
	v_fma_f64 v[104:105], v[186:187], s[20:21], v[104:105]
	v_add_f64 v[116:117], v[112:113], v[102:103]
	v_fma_f64 v[102:103], v[146:147], s[40:41], -v[217:218]
	v_fma_f64 v[112:113], v[150:151], s[4:5], -v[221:222]
	v_fma_f64 v[217:218], v[114:115], s[4:5], v[227:228]
	buffer_store_dword v116, off, s[60:63], 0 offset:264 ; 4-byte Folded Spill
	s_nop 0
	buffer_store_dword v117, off, s[60:63], 0 offset:268 ; 4-byte Folded Spill
	buffer_store_dword v118, off, s[60:63], 0 offset:272 ; 4-byte Folded Spill
	buffer_store_dword v119, off, s[60:63], 0 offset:276 ; 4-byte Folded Spill
	v_add_f64 v[102:103], v[30:31], v[102:103]
	v_mul_f64 v[221:222], v[178:179], s[54:55]
	v_add_f64 v[102:103], v[112:113], v[102:103]
	v_fma_f64 v[112:113], v[108:109], s[40:41], v[223:224]
	v_mul_f64 v[223:224], v[124:125], s[30:31]
	v_mul_f64 v[124:125], v[124:125], s[34:35]
	v_add_f64 v[112:113], v[28:29], v[112:113]
	v_add_f64 v[112:113], v[217:218], v[112:113]
	v_fma_f64 v[217:218], v[170:171], s[28:29], -v[229:230]
	v_add_f64 v[102:103], v[217:218], v[102:103]
	v_fma_f64 v[217:218], v[128:129], s[28:29], v[238:239]
	v_add_f64 v[112:113], v[217:218], v[112:113]
	v_fma_f64 v[217:218], v[188:189], s[8:9], -v[242:243]
	v_add_f64 v[102:103], v[217:218], v[102:103]
	v_fma_f64 v[217:218], v[138:139], s[8:9], v[244:245]
	;; [unrolled: 4-line block ×3, first 2 shown]
	v_mul_f64 v[248:249], v[190:191], s[26:27]
	v_add_f64 v[112:113], v[217:218], v[112:113]
	v_fma_f64 v[217:218], v[232:233], s[18:19], -v[250:251]
	v_mul_f64 v[250:251], v[106:107], s[26:27]
	v_mul_f64 v[106:107], v[106:107], s[48:49]
	v_add_f64 v[102:103], v[217:218], v[102:103]
	v_fma_f64 v[217:218], v[236:237], s[24:25], -v[225:226]
	v_mul_f64 v[225:226], v[154:155], s[48:49]
	v_mul_f64 v[154:155], v[154:155], s[46:47]
	v_add_f64 v[102:103], v[217:218], v[102:103]
	v_fma_f64 v[217:218], v[162:163], s[18:19], v[254:255]
	v_fma_f64 v[227:228], v[114:115], s[18:19], -v[225:226]
	v_add_f64 v[118:119], v[110:111], v[102:103]
	v_add_f64 v[112:113], v[217:218], v[112:113]
	v_fma_f64 v[217:218], v[174:175], s[24:25], v[219:220]
	v_mul_f64 v[102:103], v[122:123], s[30:31]
	v_mul_f64 v[110:111], v[142:143], s[22:23]
	;; [unrolled: 1-line block ×3, first 2 shown]
	v_add_f64 v[112:113], v[217:218], v[112:113]
	v_fma_f64 v[60:61], v[146:147], s[28:29], v[102:103]
	v_mul_f64 v[217:218], v[156:157], s[6:7]
	v_fma_f64 v[56:57], v[146:147], s[28:29], -v[102:103]
	v_fma_f64 v[102:103], v[114:115], s[18:19], v[225:226]
	v_add_f64 v[116:117], v[104:105], v[112:113]
	v_mul_f64 v[104:105], v[132:133], s[48:49]
	v_add_f64 v[60:61], v[30:31], v[60:61]
	v_mul_f64 v[112:113], v[140:141], s[56:57]
	v_add_f64 v[56:57], v[30:31], v[56:57]
	buffer_store_dword v116, off, s[60:63], 0 offset:368 ; 4-byte Folded Spill
	s_nop 0
	buffer_store_dword v117, off, s[60:63], 0 offset:372 ; 4-byte Folded Spill
	buffer_store_dword v118, off, s[60:63], 0 offset:376 ; 4-byte Folded Spill
	;; [unrolled: 1-line block ×3, first 2 shown]
	v_fma_f64 v[62:63], v[150:151], s[18:19], v[104:105]
	v_fma_f64 v[58:59], v[150:151], s[18:19], -v[104:105]
	v_fma_f64 v[104:105], v[186:187], s[24:25], v[250:251]
	buffer_load_dword v116, off, s[60:63], 0 offset:440 ; 4-byte Folded Reload
	buffer_load_dword v117, off, s[60:63], 0 offset:444 ; 4-byte Folded Reload
	v_add_f64 v[60:61], v[62:63], v[60:61]
	v_fma_f64 v[62:63], v[170:171], s[20:21], v[110:111]
	v_add_f64 v[56:57], v[58:59], v[56:57]
	v_fma_f64 v[58:59], v[170:171], s[20:21], -v[110:111]
	v_mul_f64 v[110:111], v[142:143], s[6:7]
	v_add_f64 v[60:61], v[62:63], v[60:61]
	v_fma_f64 v[62:63], v[188:189], s[36:37], v[112:113]
	v_add_f64 v[56:57], v[58:59], v[56:57]
	v_fma_f64 v[58:59], v[188:189], s[36:37], -v[112:113]
	v_mul_f64 v[112:113], v[140:141], s[30:31]
	v_fma_f64 v[84:85], v[170:171], s[4:5], -v[110:111]
	v_add_f64 v[60:61], v[62:63], v[60:61]
	v_fma_f64 v[62:63], v[202:203], s[4:5], v[217:218]
	v_add_f64 v[56:57], v[58:59], v[56:57]
	v_fma_f64 v[58:59], v[202:203], s[4:5], -v[217:218]
	v_mul_f64 v[217:218], v[156:157], s[58:59]
	v_add_f64 v[60:61], v[62:63], v[60:61]
	v_fma_f64 v[62:63], v[232:233], s[40:41], v[219:220]
	v_add_f64 v[56:57], v[58:59], v[56:57]
	v_fma_f64 v[58:59], v[232:233], s[40:41], -v[219:220]
	v_mul_f64 v[219:220], v[164:165], s[14:15]
	;; [unrolled: 5-line block ×3, first 2 shown]
	v_add_f64 v[60:61], v[62:63], v[60:61]
	v_fma_f64 v[62:63], v[108:109], s[28:29], -v[223:224]
	v_add_f64 v[56:57], v[58:59], v[56:57]
	v_fma_f64 v[58:59], v[108:109], s[28:29], v[223:224]
	v_fma_f64 v[223:224], v[114:115], s[24:25], -v[154:155]
	v_add_f64 v[62:63], v[28:29], v[62:63]
	v_add_f64 v[58:59], v[28:29], v[58:59]
	;; [unrolled: 1-line block ×3, first 2 shown]
	v_mul_f64 v[227:228], v[166:167], s[22:23]
	v_add_f64 v[58:59], v[102:103], v[58:59]
	v_mul_f64 v[166:167], v[166:167], s[6:7]
	v_fma_f64 v[229:230], v[128:129], s[20:21], -v[227:228]
	v_fma_f64 v[102:103], v[128:129], s[20:21], v[227:228]
	v_add_f64 v[62:63], v[229:230], v[62:63]
	v_mul_f64 v[229:230], v[194:195], s[56:57]
	v_add_f64 v[58:59], v[102:103], v[58:59]
	v_mul_f64 v[194:195], v[194:195], s[30:31]
	v_fma_f64 v[238:239], v[138:139], s[36:37], -v[229:230]
	v_fma_f64 v[102:103], v[138:139], s[36:37], v[229:230]
	v_mul_f64 v[229:230], v[190:191], s[48:49]
	v_add_f64 v[62:63], v[238:239], v[62:63]
	v_mul_f64 v[238:239], v[210:211], s[6:7]
	v_add_f64 v[58:59], v[102:103], v[58:59]
	v_mul_f64 v[210:211], v[210:211], s[58:59]
	v_fma_f64 v[242:243], v[152:153], s[4:5], -v[238:239]
	v_fma_f64 v[102:103], v[152:153], s[4:5], v[238:239]
	v_add_f64 v[62:63], v[242:243], v[62:63]
	v_mul_f64 v[242:243], v[234:235], s[42:43]
	v_add_f64 v[58:59], v[102:103], v[58:59]
	v_fma_f64 v[244:245], v[162:163], s[40:41], -v[242:243]
	v_fma_f64 v[102:103], v[162:163], s[40:41], v[242:243]
	v_add_f64 v[62:63], v[244:245], v[62:63]
	v_mul_f64 v[244:245], v[240:241], s[54:55]
	v_add_f64 v[58:59], v[102:103], v[58:59]
	v_fma_f64 v[102:103], v[174:175], s[8:9], v[244:245]
	v_fma_f64 v[246:247], v[174:175], s[8:9], -v[244:245]
	v_add_f64 v[102:103], v[102:103], v[58:59]
	v_fma_f64 v[58:59], v[252:253], s[24:25], -v[248:249]
	v_add_f64 v[246:247], v[246:247], v[62:63]
	v_fma_f64 v[62:63], v[252:253], s[24:25], v[248:249]
	v_add_f64 v[58:59], v[58:59], v[56:57]
	v_add_f64 v[56:57], v[104:105], v[102:103]
	v_mul_f64 v[102:103], v[122:123], s[34:35]
	v_mul_f64 v[104:105], v[132:133], s[46:47]
	v_add_f64 v[62:63], v[62:63], v[60:61]
	v_fma_f64 v[60:61], v[186:187], s[24:25], -v[250:251]
	v_fma_f64 v[68:69], v[146:147], s[36:37], v[102:103]
	v_fma_f64 v[70:71], v[150:151], s[24:25], v[104:105]
	v_fma_f64 v[76:77], v[146:147], s[36:37], -v[102:103]
	v_fma_f64 v[102:103], v[150:151], s[24:25], -v[104:105]
	v_fma_f64 v[104:105], v[114:115], s[24:25], v[154:155]
	v_add_f64 v[60:61], v[60:61], v[246:247]
	v_add_f64 v[68:69], v[30:31], v[68:69]
	;; [unrolled: 1-line block ×4, first 2 shown]
	v_fma_f64 v[70:71], v[170:171], s[4:5], v[110:111]
	v_add_f64 v[76:77], v[102:103], v[76:77]
	v_fma_f64 v[102:103], v[188:189], s[28:29], -v[112:113]
	v_mul_f64 v[110:111], v[122:123], s[26:27]
	v_add_f64 v[68:69], v[70:71], v[68:69]
	v_fma_f64 v[70:71], v[188:189], s[28:29], v[112:113]
	v_add_f64 v[76:77], v[84:85], v[76:77]
	v_fma_f64 v[84:85], v[202:203], s[20:21], -v[217:218]
	v_add_f64 v[110:111], v[200:201], -v[110:111]
	v_mul_f64 v[112:113], v[132:133], s[38:39]
	v_add_f64 v[68:69], v[70:71], v[68:69]
	v_fma_f64 v[70:71], v[202:203], s[20:21], v[217:218]
	v_add_f64 v[76:77], v[102:103], v[76:77]
	v_fma_f64 v[102:103], v[232:233], s[8:9], -v[219:220]
	v_add_f64 v[112:113], v[204:205], -v[112:113]
	v_add_f64 v[110:111], v[30:31], v[110:111]
	v_add_f64 v[68:69], v[70:71], v[68:69]
	v_fma_f64 v[70:71], v[232:233], s[8:9], v[219:220]
	v_add_f64 v[76:77], v[84:85], v[76:77]
	v_fma_f64 v[84:85], v[236:237], s[40:41], -v[221:222]
	v_add_f64 v[110:111], v[112:113], v[110:111]
	v_mul_f64 v[112:113], v[140:141], s[16:17]
	v_add_f64 v[68:69], v[70:71], v[68:69]
	v_fma_f64 v[70:71], v[236:237], s[40:41], v[221:222]
	v_add_f64 v[76:77], v[102:103], v[76:77]
	v_fma_f64 v[102:103], v[252:253], s[18:19], -v[229:230]
	v_add_f64 v[112:113], v[206:207], -v[112:113]
	v_add_f64 v[68:69], v[70:71], v[68:69]
	v_fma_f64 v[70:71], v[108:109], s[36:37], -v[124:125]
	v_add_f64 v[76:77], v[84:85], v[76:77]
	v_fma_f64 v[84:85], v[108:109], s[36:37], v[124:125]
	v_mul_f64 v[124:125], v[128:129], s[24:25]
	v_add_f64 v[70:71], v[28:29], v[70:71]
	v_add_f64 v[76:77], v[102:103], v[76:77]
	;; [unrolled: 1-line block ×4, first 2 shown]
	v_mul_f64 v[126:127], v[108:109], s[20:21]
	v_add_f64 v[70:71], v[223:224], v[70:71]
	v_fma_f64 v[223:224], v[128:129], s[4:5], -v[166:167]
	v_add_f64 v[84:85], v[104:105], v[84:85]
	v_fma_f64 v[104:105], v[128:129], s[4:5], v[166:167]
	s_waitcnt vmcnt(0)
	v_add_f64 v[126:127], v[126:127], v[116:117]
	buffer_load_dword v116, off, s[60:63], 0 offset:248 ; 4-byte Folded Reload
	buffer_load_dword v117, off, s[60:63], 0 offset:252 ; 4-byte Folded Reload
	v_add_f64 v[70:71], v[223:224], v[70:71]
	v_fma_f64 v[223:224], v[138:139], s[28:29], -v[194:195]
	v_add_f64 v[84:85], v[104:105], v[84:85]
	v_fma_f64 v[104:105], v[138:139], s[28:29], v[194:195]
	v_add_f64 v[126:127], v[28:29], v[126:127]
	v_add_f64 v[70:71], v[223:224], v[70:71]
	v_fma_f64 v[223:224], v[152:153], s[20:21], -v[210:211]
	v_add_f64 v[84:85], v[104:105], v[84:85]
	v_fma_f64 v[104:105], v[152:153], s[20:21], v[210:211]
	v_add_f64 v[70:71], v[223:224], v[70:71]
	v_mul_f64 v[223:224], v[234:235], s[14:15]
	v_add_f64 v[84:85], v[104:105], v[84:85]
	v_fma_f64 v[225:226], v[162:163], s[8:9], -v[223:224]
	v_fma_f64 v[104:105], v[162:163], s[8:9], v[223:224]
	v_add_f64 v[70:71], v[225:226], v[70:71]
	v_mul_f64 v[225:226], v[240:241], s[42:43]
	v_add_f64 v[84:85], v[104:105], v[84:85]
	v_fma_f64 v[104:105], v[174:175], s[40:41], v[225:226]
	v_fma_f64 v[227:228], v[174:175], s[40:41], -v[225:226]
	v_add_f64 v[104:105], v[104:105], v[84:85]
	v_mul_f64 v[84:85], v[142:143], s[54:55]
	v_add_f64 v[227:228], v[227:228], v[70:71]
	v_fma_f64 v[70:71], v[252:253], s[18:19], v[229:230]
	v_add_f64 v[84:85], v[208:209], -v[84:85]
	v_add_f64 v[70:71], v[70:71], v[68:69]
	v_fma_f64 v[68:69], v[186:187], s[18:19], -v[106:107]
	v_fma_f64 v[106:107], v[186:187], s[18:19], v[106:107]
	v_add_f64 v[84:85], v[84:85], v[110:111]
	v_mul_f64 v[110:111], v[156:157], s[42:43]
	v_add_f64 v[68:69], v[68:69], v[227:228]
	v_add_f64 v[84:85], v[112:113], v[84:85]
	v_add_f64 v[110:111], v[212:213], -v[110:111]
	v_mul_f64 v[112:113], v[164:165], s[58:59]
	v_add_f64 v[84:85], v[110:111], v[84:85]
	v_add_f64 v[112:113], v[214:215], -v[112:113]
	v_mul_f64 v[110:111], v[178:179], s[6:7]
	;; [unrolled: 3-line block ×3, first 2 shown]
	v_mul_f64 v[112:113], v[132:133], s[42:43]
	v_add_f64 v[84:85], v[92:93], v[84:85]
	v_mul_f64 v[92:93], v[128:129], s[8:9]
	v_add_f64 v[94:95], v[94:95], -v[110:111]
	v_mul_f64 v[110:111], v[114:115], s[28:29]
	v_add_f64 v[112:113], v[136:137], -v[112:113]
	v_add_f64 v[88:89], v[92:93], v[88:89]
	v_mul_f64 v[92:93], v[108:109], s[24:25]
	v_add_f64 v[110:111], v[110:111], v[182:183]
	v_add_f64 v[84:85], v[94:95], v[84:85]
	v_mul_f64 v[182:183], v[190:191], s[30:31]
	v_add_f64 v[92:93], v[92:93], v[180:181]
	v_add_f64 v[92:93], v[28:29], v[92:93]
	;; [unrolled: 1-line block ×3, first 2 shown]
	v_mul_f64 v[110:111], v[138:139], s[18:19]
	v_add_f64 v[88:89], v[88:89], v[92:93]
	v_add_f64 v[110:111], v[110:111], v[184:185]
	v_mul_f64 v[92:93], v[152:153], s[40:41]
	v_mul_f64 v[184:185], v[186:187], s[28:29]
	v_add_f64 v[88:89], v[110:111], v[88:89]
	v_mul_f64 v[110:111], v[122:123], s[22:23]
	v_add_f64 v[90:91], v[92:93], v[90:91]
	v_mul_f64 v[92:93], v[162:163], s[20:21]
	v_add_f64 v[110:111], v[134:135], -v[110:111]
	v_mul_f64 v[134:135], v[114:115], s[40:41]
	v_add_f64 v[92:93], v[92:93], v[192:193]
	v_add_f64 v[88:89], v[90:91], v[88:89]
	v_mul_f64 v[90:91], v[174:175], s[4:5]
	v_add_f64 v[110:111], v[30:31], v[110:111]
	s_waitcnt vmcnt(0)
	v_add_f64 v[116:117], v[134:135], v[116:117]
	v_add_f64 v[88:89], v[92:93], v[88:89]
	;; [unrolled: 1-line block ×3, first 2 shown]
	v_mul_f64 v[92:93], v[186:187], s[36:37]
	v_add_f64 v[110:111], v[112:113], v[110:111]
	v_add_f64 v[116:117], v[116:117], v[126:127]
	v_mul_f64 v[126:127], v[138:139], s[4:5]
	v_mul_f64 v[112:113], v[140:141], s[50:51]
	v_add_f64 v[90:91], v[90:91], v[88:89]
	v_mul_f64 v[88:89], v[142:143], s[46:47]
	v_add_f64 v[92:93], v[92:93], v[198:199]
	v_add_f64 v[116:117], v[124:125], v[116:117]
	;; [unrolled: 1-line block ×3, first 2 shown]
	v_mul_f64 v[124:125], v[152:153], s[18:19]
	buffer_load_dword v126, off, s[60:63], 0 offset:208 ; 4-byte Folded Reload
	buffer_load_dword v127, off, s[60:63], 0 offset:212 ; 4-byte Folded Reload
	v_add_f64 v[88:89], v[158:159], -v[88:89]
	v_add_f64 v[112:113], v[148:149], -v[112:113]
	v_add_f64 v[116:117], v[120:121], v[116:117]
	v_add_f64 v[124:125], v[124:125], v[130:131]
	buffer_load_dword v130, off, s[60:63], 0 offset:192 ; 4-byte Folded Reload
	buffer_load_dword v131, off, s[60:63], 0 offset:196 ; 4-byte Folded Reload
	;; [unrolled: 1-line block ×4, first 2 shown]
	v_mul_f64 v[120:121], v[142:143], s[52:53]
	v_add_f64 v[88:89], v[88:89], v[110:111]
	v_mul_f64 v[110:111], v[156:157], s[16:17]
	v_add_f64 v[116:117], v[124:125], v[116:117]
	;; [unrolled: 2-line block ×3, first 2 shown]
	v_add_f64 v[110:111], v[160:161], -v[110:111]
	v_mul_f64 v[112:113], v[164:165], s[30:31]
	v_add_f64 v[88:89], v[110:111], v[88:89]
	v_add_f64 v[112:113], v[168:169], -v[112:113]
	v_mul_f64 v[110:111], v[178:179], s[56:57]
	v_add_f64 v[88:89], v[112:113], v[88:89]
	;; [unrolled: 3-line block ×3, first 2 shown]
	v_mul_f64 v[110:111], v[162:163], s[28:29]
	v_add_f64 v[112:113], v[176:177], -v[112:113]
	v_mul_f64 v[176:177], v[178:179], s[48:49]
	v_add_f64 v[110:111], v[110:111], v[144:145]
	v_add_f64 v[88:89], v[112:113], v[88:89]
	;; [unrolled: 1-line block ×3, first 2 shown]
	v_mul_f64 v[116:117], v[122:123], s[6:7]
	s_waitcnt vmcnt(4)
	v_add_f64 v[120:121], v[126:127], -v[120:121]
	v_mul_f64 v[126:127], v[122:123], s[16:17]
	v_mul_f64 v[122:123], v[122:123], s[14:15]
	s_waitcnt vmcnt(2)
	v_add_f64 v[126:127], v[130:131], -v[126:127]
	v_mul_f64 v[130:131], v[132:133], s[34:35]
	v_add_f64 v[126:127], v[30:31], v[126:127]
	s_waitcnt vmcnt(0)
	v_add_f64 v[130:131], v[134:135], -v[130:131]
	buffer_load_dword v134, off, s[60:63], 0 offset:216 ; 4-byte Folded Reload
	buffer_load_dword v135, off, s[60:63], 0 offset:220 ; 4-byte Folded Reload
	v_add_f64 v[126:127], v[130:131], v[126:127]
	v_mul_f64 v[130:131], v[140:141], s[46:47]
	v_add_f64 v[120:121], v[120:121], v[126:127]
	v_mul_f64 v[126:127], v[156:157], s[54:55]
	s_waitcnt vmcnt(0)
	v_add_f64 v[130:131], v[134:135], -v[130:131]
	buffer_load_dword v134, off, s[60:63], 0 offset:240 ; 4-byte Folded Reload
	buffer_load_dword v135, off, s[60:63], 0 offset:244 ; 4-byte Folded Reload
	;; [unrolled: 1-line block ×28, first 2 shown]
	v_add_f64 v[120:121], v[130:131], v[120:121]
	v_mul_f64 v[130:131], v[108:109], s[4:5]
	s_waitcnt vmcnt(26)
	v_add_f64 v[126:127], v[134:135], -v[126:127]
	v_mul_f64 v[134:135], v[164:165], s[6:7]
	s_waitcnt vmcnt(24)
	v_add_f64 v[118:119], v[124:125], v[118:119]
	v_mul_f64 v[124:125], v[186:187], s[8:9]
	s_waitcnt vmcnt(12)
	v_add_f64 v[122:123], v[154:155], -v[122:123]
	v_mul_f64 v[154:155], v[142:143], s[16:17]
	v_mul_f64 v[142:143], v[142:143], s[34:35]
	v_add_f64 v[134:135], v[136:137], -v[134:135]
	v_mul_f64 v[136:137], v[178:179], s[22:23]
	v_add_f64 v[120:121], v[126:127], v[120:121]
	v_mul_f64 v[126:127], v[108:109], s[8:9]
	v_add_f64 v[124:125], v[124:125], v[144:145]
	v_mul_f64 v[144:145], v[138:139], s[24:25]
	v_mul_f64 v[108:109], v[108:109], s[18:19]
	s_waitcnt vmcnt(4)
	v_add_f64 v[142:143], v[168:169], -v[142:143]
	v_mul_f64 v[168:169], v[156:157], s[26:27]
	v_mul_f64 v[156:157], v[156:157], s[38:39]
	v_add_f64 v[136:137], v[146:147], -v[136:137]
	v_mul_f64 v[146:147], v[114:115], s[8:9]
	v_add_f64 v[110:111], v[118:119], v[110:111]
	v_add_f64 v[144:145], v[144:145], v[148:149]
	v_mul_f64 v[148:149], v[114:115], s[20:21]
	v_mul_f64 v[114:115], v[114:115], s[36:37]
	v_add_f64 v[108:109], v[108:109], v[158:159]
	s_waitcnt vmcnt(0)
	v_add_f64 v[156:157], v[172:173], -v[156:157]
	v_mul_f64 v[172:173], v[178:179], s[30:31]
	buffer_load_dword v178, off, s[60:63], 0 offset:144 ; 4-byte Folded Reload
	buffer_load_dword v179, off, s[60:63], 0 offset:148 ; 4-byte Folded Reload
	;; [unrolled: 1-line block ×8, first 2 shown]
	v_mul_f64 v[118:119], v[128:129], s[40:41]
	v_add_f64 v[120:121], v[134:135], v[120:121]
	v_mul_f64 v[134:135], v[132:133], s[14:15]
	v_mul_f64 v[132:133], v[132:133], s[22:23]
	v_add_f64 v[114:115], v[114:115], v[166:167]
	v_add_f64 v[108:109], v[28:29], v[108:109]
	;; [unrolled: 1-line block ×3, first 2 shown]
	v_mul_f64 v[166:167], v[152:153], s[24:25]
	v_add_f64 v[118:119], v[118:119], v[150:151]
	v_add_f64 v[102:103], v[136:137], v[120:121]
	v_mul_f64 v[150:151], v[128:129], s[18:19]
	v_add_f64 v[132:133], v[160:161], -v[132:133]
	v_mul_f64 v[160:161], v[140:141], s[22:23]
	v_add_f64 v[108:109], v[114:115], v[108:109]
	v_mul_f64 v[114:115], v[162:163], s[36:37]
	v_mul_f64 v[140:141], v[140:141], s[42:43]
	;; [unrolled: 1-line block ×5, first 2 shown]
	v_add_f64 v[122:123], v[132:133], v[122:123]
	v_mul_f64 v[132:133], v[152:153], s[28:29]
	v_mul_f64 v[152:153], v[152:153], s[8:9]
	v_add_f64 v[108:109], v[118:119], v[108:109]
	v_add_f64 v[140:141], v[170:171], -v[140:141]
	v_mul_f64 v[170:171], v[164:165], s[34:35]
	v_mul_f64 v[164:165], v[164:165], s[46:47]
	;; [unrolled: 1-line block ×3, first 2 shown]
	v_add_f64 v[122:123], v[142:143], v[122:123]
	v_mul_f64 v[142:143], v[162:163], s[24:25]
	v_mul_f64 v[162:163], v[162:163], s[4:5]
	v_add_f64 v[108:109], v[144:145], v[108:109]
	v_mul_f64 v[144:145], v[190:191], s[42:43]
	v_add_f64 v[122:123], v[140:141], v[122:123]
	v_mul_f64 v[140:141], v[174:175], s[18:19]
	v_mul_f64 v[174:175], v[174:175], s[20:21]
	v_add_f64 v[122:123], v[156:157], v[122:123]
	v_mul_f64 v[156:157], v[190:191], s[50:51]
	s_waitcnt vmcnt(6)
	v_add_f64 v[152:153], v[152:153], v[178:179]
	s_waitcnt vmcnt(4)
	v_add_f64 v[164:165], v[180:181], -v[164:165]
	v_mul_f64 v[178:179], v[186:187], s[40:41]
	s_waitcnt vmcnt(0)
	v_add_f64 v[86:87], v[162:163], v[86:87]
	v_mul_f64 v[180:181], v[186:187], s[4:5]
	v_add_f64 v[78:79], v[78:79], -v[182:183]
	v_add_f64 v[94:95], v[152:153], v[108:109]
	buffer_load_dword v108, off, s[60:63], 0 offset:80 ; 4-byte Folded Reload
	buffer_load_dword v109, off, s[60:63], 0 offset:84 ; 4-byte Folded Reload
	;; [unrolled: 1-line block ×6, first 2 shown]
	v_add_f64 v[112:113], v[164:165], v[122:123]
	v_add_f64 v[24:25], v[78:79], v[102:103]
	;; [unrolled: 1-line block ×3, first 2 shown]
	buffer_load_dword v94, off, s[60:63], 0 offset:112 ; 4-byte Folded Reload
	buffer_load_dword v95, off, s[60:63], 0 offset:116 ; 4-byte Folded Reload
	;; [unrolled: 1-line block ×8, first 2 shown]
	s_waitcnt vmcnt(12)
	v_add_f64 v[108:109], v[108:109], -v[176:177]
	s_waitcnt vmcnt(10)
	v_add_f64 v[52:53], v[184:185], v[52:53]
	s_waitcnt vmcnt(8)
	v_add_f64 v[54:55], v[174:175], v[54:55]
	v_add_f64 v[108:109], v[108:109], v[112:113]
	s_waitcnt vmcnt(4)
	v_add_f64 v[116:117], v[120:121], -v[116:117]
	buffer_load_dword v112, off, s[60:63], 0 ; 4-byte Folded Reload
	buffer_load_dword v113, off, s[60:63], 0 offset:4 ; 4-byte Folded Reload
	buffer_load_dword v120, off, s[60:63], 0 offset:312 ; 4-byte Folded Reload
	;; [unrolled: 1-line block ×3, first 2 shown]
	s_waitcnt vmcnt(6)
	v_add_f64 v[80:81], v[130:131], v[80:81]
	s_waitcnt vmcnt(4)
	v_add_f64 v[82:83], v[126:127], v[82:83]
	v_add_f64 v[94:95], v[94:95], -v[156:157]
	v_add_f64 v[30:31], v[30:31], v[116:117]
	buffer_load_dword v116, off, s[60:63], 0 offset:408 ; 4-byte Folded Reload
	buffer_load_dword v117, off, s[60:63], 0 offset:412 ; 4-byte Folded Reload
	;; [unrolled: 1-line block ×4, first 2 shown]
	v_add_f64 v[72:73], v[28:29], v[80:81]
	buffer_load_dword v80, off, s[60:63], 0 offset:288 ; 4-byte Folded Reload
	buffer_load_dword v81, off, s[60:63], 0 offset:292 ; 4-byte Folded Reload
	v_add_f64 v[28:29], v[28:29], v[82:83]
	buffer_load_dword v82, off, s[60:63], 0 offset:392 ; 4-byte Folded Reload
	buffer_load_dword v83, off, s[60:63], 0 offset:396 ; 4-byte Folded Reload
	;; [unrolled: 1-line block ×4, first 2 shown]
	s_waitcnt vmcnt(12)
	v_add_f64 v[112:113], v[148:149], v[112:113]
	s_waitcnt vmcnt(10)
	v_add_f64 v[120:121], v[120:121], -v[134:135]
	s_waitcnt vmcnt(8)
	v_add_f64 v[116:117], v[146:147], v[116:117]
	v_add_f64 v[30:31], v[120:121], v[30:31]
	s_waitcnt vmcnt(6)
	v_add_f64 v[74:75], v[128:129], v[74:75]
	s_waitcnt vmcnt(4)
	v_add_f64 v[80:81], v[80:81], -v[154:155]
	v_add_f64 v[28:29], v[112:113], v[28:29]
	s_waitcnt vmcnt(2)
	v_add_f64 v[82:83], v[150:151], v[82:83]
	s_waitcnt vmcnt(0)
	v_add_f64 v[66:67], v[138:139], v[66:67]
	v_add_f64 v[64:65], v[116:117], v[72:73]
	buffer_load_dword v72, off, s[60:63], 0 offset:384 ; 4-byte Folded Reload
	buffer_load_dword v73, off, s[60:63], 0 offset:388 ; 4-byte Folded Reload
	v_add_f64 v[30:31], v[80:81], v[30:31]
	buffer_load_dword v80, off, s[60:63], 0 offset:280 ; 4-byte Folded Reload
	buffer_load_dword v81, off, s[60:63], 0 offset:284 ; 4-byte Folded Reload
	;; [unrolled: 1-line block ×4, first 2 shown]
	v_add_f64 v[28:29], v[74:75], v[28:29]
	v_add_f64 v[74:75], v[106:107], v[104:105]
	;; [unrolled: 1-line block ×3, first 2 shown]
	buffer_load_dword v64, off, s[60:63], 0 offset:360 ; 4-byte Folded Reload
	buffer_load_dword v65, off, s[60:63], 0 offset:364 ; 4-byte Folded Reload
	v_add_f64 v[82:83], v[92:93], v[90:91]
	v_add_f64 v[28:29], v[66:67], v[28:29]
	s_waitcnt vmcnt(6)
	v_add_f64 v[72:73], v[72:73], -v[160:161]
	s_waitcnt vmcnt(4)
	v_add_f64 v[80:81], v[158:159], v[80:81]
	s_waitcnt vmcnt(2)
	v_add_f64 v[50:51], v[132:133], v[50:51]
	v_add_f64 v[30:31], v[72:73], v[30:31]
	buffer_load_dword v72, off, s[60:63], 0 offset:344 ; 4-byte Folded Reload
	buffer_load_dword v73, off, s[60:63], 0 offset:348 ; 4-byte Folded Reload
	s_waitcnt vmcnt(2)
	v_add_f64 v[64:65], v[64:65], -v[168:169]
	v_add_f64 v[44:45], v[80:81], v[48:49]
	buffer_load_dword v46, off, s[60:63], 0 offset:32 ; 4-byte Folded Reload
	buffer_load_dword v47, off, s[60:63], 0 offset:36 ; 4-byte Folded Reload
	;; [unrolled: 1-line block ×4, first 2 shown]
	v_add_f64 v[28:29], v[50:51], v[28:29]
	v_add_f64 v[30:31], v[64:65], v[30:31]
	buffer_load_dword v64, off, s[60:63], 0 offset:320 ; 4-byte Folded Reload
	buffer_load_dword v65, off, s[60:63], 0 offset:324 ; 4-byte Folded Reload
	;; [unrolled: 1-line block ×4, first 2 shown]
	s_waitcnt vmcnt(8)
	v_add_f64 v[72:73], v[166:167], v[72:73]
	s_waitcnt vmcnt(6)
	v_add_f64 v[46:47], v[142:143], v[46:47]
	s_waitcnt vmcnt(4)
	v_add_f64 v[48:49], v[48:49], -v[170:171]
	v_add_f64 v[40:41], v[72:73], v[44:45]
	buffer_load_dword v44, off, s[60:63], 0 offset:336 ; 4-byte Folded Reload
	buffer_load_dword v45, off, s[60:63], 0 offset:340 ; 4-byte Folded Reload
	s_waitcnt vmcnt(4)
	v_add_f64 v[64:65], v[114:115], v[64:65]
	s_waitcnt vmcnt(2)
	v_add_f64 v[42:43], v[140:141], v[42:43]
	v_add_f64 v[30:31], v[48:49], v[30:31]
	buffer_load_dword v48, off, s[60:63], 0 offset:304 ; 4-byte Folded Reload
	buffer_load_dword v49, off, s[60:63], 0 offset:308 ; 4-byte Folded Reload
	buffer_load_dword v38, off, s[60:63], 0 offset:48 ; 4-byte Folded Reload
	buffer_load_dword v39, off, s[60:63], 0 offset:52 ; 4-byte Folded Reload
	v_add_f64 v[28:29], v[46:47], v[28:29]
	v_add_f64 v[36:37], v[64:65], v[40:41]
	buffer_load_dword v40, off, s[60:63], 0 offset:328 ; 4-byte Folded Reload
	buffer_load_dword v41, off, s[60:63], 0 offset:332 ; 4-byte Folded Reload
	v_add_f64 v[42:43], v[42:43], v[28:29]
	v_add_f64 v[28:29], v[94:95], v[108:109]
	s_waitcnt vmcnt(6)
	v_add_f64 v[44:45], v[44:45], -v[172:173]
	s_waitcnt vmcnt(4)
	v_add_f64 v[48:49], v[118:119], v[48:49]
	s_waitcnt vmcnt(2)
	v_add_f64 v[38:39], v[180:181], v[38:39]
	v_add_f64 v[30:31], v[44:45], v[30:31]
	buffer_load_dword v44, off, s[60:63], 0 offset:296 ; 4-byte Folded Reload
	buffer_load_dword v45, off, s[60:63], 0 offset:300 ; 4-byte Folded Reload
	s_waitcnt vmcnt(2)
	v_add_f64 v[40:41], v[40:41], -v[144:145]
	v_add_f64 v[46:47], v[48:49], v[36:37]
	v_add_f64 v[48:49], v[54:55], v[86:87]
	;; [unrolled: 1-line block ×7, first 2 shown]
	s_waitcnt vmcnt(0)
	v_add_f64 v[44:45], v[178:179], v[44:45]
	v_add_f64 v[30:31], v[44:45], v[46:47]
	ds_write_b128 v20, v[34:37]
	ds_write_b128 v20, v[30:33] offset:16
	ds_write_b128 v20, v[26:29] offset:32
	ds_write_b128 v20, v[22:25] offset:48
	ds_write_b128 v20, v[86:89] offset:64
	ds_write_b128 v20, v[82:85] offset:80
	ds_write_b128 v20, v[74:77] offset:96
	ds_write_b128 v20, v[56:59] offset:112
	buffer_load_dword v21, off, s[60:63], 0 offset:368 ; 4-byte Folded Reload
	buffer_load_dword v22, off, s[60:63], 0 offset:372 ; 4-byte Folded Reload
	;; [unrolled: 1-line block ×4, first 2 shown]
	s_waitcnt vmcnt(0)
	ds_write_b128 v20, v[21:24] offset:128
	buffer_load_dword v21, off, s[60:63], 0 offset:264 ; 4-byte Folded Reload
	buffer_load_dword v22, off, s[60:63], 0 offset:268 ; 4-byte Folded Reload
	;; [unrolled: 1-line block ×4, first 2 shown]
	s_waitcnt vmcnt(0)
	ds_write_b128 v20, v[21:24] offset:144
	ds_write_b128 v20, v[60:63] offset:160
	;; [unrolled: 1-line block ×8, first 2 shown]
.LBB0_15:
	s_or_b64 exec, exec, s[44:45]
	s_movk_i32 s4, 0xf1
	v_add_u32_e32 v80, 0xaa, v98
	v_mul_lo_u16_sdwa v21, v98, s4 dst_sel:DWORD dst_unused:UNUSED_PAD src0_sel:BYTE_0 src1_sel:DWORD
	s_mov_b32 s4, 0xf0f1
	v_mul_u32_u24_sdwa v99, v80, s4 dst_sel:DWORD dst_unused:UNUSED_PAD src0_sel:WORD_0 src1_sel:DWORD
	v_lshrrev_b16_e32 v79, 12, v21
	v_lshrrev_b32_e32 v132, 20, v99
	v_mul_lo_u16_e32 v21, 17, v79
	v_mul_lo_u16_e32 v29, 17, v132
	v_add_u32_e32 v20, 0x154, v98
	v_sub_u16_e32 v95, v98, v21
	v_mov_b32_e32 v21, 3
	v_sub_u16_e32 v133, v80, v29
	v_mul_u32_u24_sdwa v21, v95, v21 dst_sel:DWORD dst_unused:UNUSED_PAD src0_sel:BYTE_0 src1_sel:DWORD
	v_mul_u32_u24_e32 v29, 3, v133
	v_mul_u32_u24_sdwa v134, v20, s4 dst_sel:DWORD dst_unused:UNUSED_PAD src0_sel:WORD_0 src1_sel:DWORD
	v_lshlrev_b32_e32 v45, 4, v21
	v_lshlrev_b32_e32 v46, 4, v29
	v_lshrrev_b32_e32 v135, 20, v134
	s_load_dwordx2 s[2:3], s[2:3], 0x0
	s_waitcnt lgkmcnt(0)
	s_barrier
	global_load_dwordx4 v[21:24], v45, s[12:13] offset:16
	global_load_dwordx4 v[25:28], v45, s[12:13]
	global_load_dwordx4 v[29:32], v46, s[12:13] offset:32
	global_load_dwordx4 v[33:36], v46, s[12:13] offset:16
	;; [unrolled: 1-line block ×3, first 2 shown]
	global_load_dwordx4 v[41:44], v46, s[12:13]
	v_mul_lo_u16_e32 v45, 17, v135
	v_sub_u16_e32 v136, v20, v45
	v_mul_u32_u24_e32 v45, 3, v136
	v_lshlrev_b32_e32 v57, 4, v45
	global_load_dwordx4 v[45:48], v57, s[12:13]
	global_load_dwordx4 v[49:52], v57, s[12:13] offset:16
	global_load_dwordx4 v[53:56], v57, s[12:13] offset:32
	ds_read_b128 v[57:60], v216
	ds_read_b128 v[61:64], v216 offset:2720
	ds_read_b128 v[65:68], v216 offset:16320
	;; [unrolled: 1-line block ×11, first 2 shown]
	s_waitcnt vmcnt(0) lgkmcnt(0)
	s_barrier
	s_movk_i32 s5, 0x79
	v_lshrrev_b32_e32 v99, 22, v99
	v_add_u32_e32 v137, 0x1fe, v98
	s_mov_b32 s7, 0x3febb67a
	v_cmp_gt_u32_e32 vcc, 34, v98
	v_mul_f64 v[124:125], v[112:113], v[31:32]
	v_mul_f64 v[93:94], v[67:68], v[23:24]
	;; [unrolled: 1-line block ×18, first 2 shown]
	v_fma_f64 v[73:74], v[73:74], v[25:26], v[77:78]
	v_fma_f64 v[25:26], v[75:76], v[25:26], -v[27:28]
	v_fma_f64 v[27:28], v[65:66], v[21:22], v[93:94]
	v_fma_f64 v[21:22], v[67:68], v[21:22], -v[23:24]
	;; [unrolled: 2-line block ×9, first 2 shown]
	v_add_f64 v[55:56], v[57:58], -v[27:28]
	v_add_f64 v[65:66], v[59:60], -v[21:22]
	;; [unrolled: 1-line block ×12, first 2 shown]
	v_fma_f64 v[51:52], v[57:58], 2.0, -v[55:56]
	v_fma_f64 v[57:58], v[59:60], 2.0, -v[65:66]
	;; [unrolled: 1-line block ×12, first 2 shown]
	v_add_f64 v[21:22], v[55:56], v[21:22]
	v_add_f64 v[25:26], v[67:68], v[29:30]
	;; [unrolled: 1-line block ×3, first 2 shown]
	v_add_f64 v[31:32], v[75:76], -v[33:34]
	v_add_f64 v[33:34], v[51:52], -v[37:38]
	;; [unrolled: 1-line block ×9, first 2 shown]
	v_fma_f64 v[37:38], v[55:56], 2.0, -v[21:22]
	v_fma_f64 v[53:54], v[51:52], 2.0, -v[33:34]
	;; [unrolled: 1-line block ×12, first 2 shown]
	v_mul_u32_u24_e32 v69, 0x440, v79
	v_mov_b32_e32 v79, 4
	v_lshlrev_b32_sdwa v70, v79, v95 dst_sel:DWORD dst_unused:UNUSED_PAD src0_sel:DWORD src1_sel:BYTE_0
	v_add3_u32 v69, 0, v69, v70
	ds_write_b128 v69, v[53:56]
	ds_write_b128 v69, v[37:40] offset:272
	ds_write_b128 v69, v[33:36] offset:544
	;; [unrolled: 1-line block ×3, first 2 shown]
	v_mul_u32_u24_e32 v21, 0x440, v132
	v_lshlrev_b32_e32 v22, 4, v133
	v_add3_u32 v21, 0, v21, v22
	ds_write_b128 v21, v[57:60]
	ds_write_b128 v21, v[49:52] offset:272
	ds_write_b128 v21, v[41:44] offset:544
	;; [unrolled: 1-line block ×3, first 2 shown]
	v_mul_u32_u24_e32 v21, 0x440, v135
	v_lshlrev_b32_e32 v22, 4, v136
	v_add3_u32 v21, 0, v21, v22
	ds_write_b128 v21, v[61:64]
	ds_write_b128 v21, v[65:68] offset:272
	ds_write_b128 v21, v[45:48] offset:544
	;; [unrolled: 1-line block ×3, first 2 shown]
	v_mul_lo_u16_sdwa v21, v98, s5 dst_sel:DWORD dst_unused:UNUSED_PAD src0_sel:BYTE_0 src1_sel:DWORD
	v_lshrrev_b16_e32 v95, 13, v21
	v_mul_lo_u16_e32 v21, 0x44, v95
	v_sub_u16_e32 v126, v98, v21
	v_mov_b32_e32 v21, 5
	v_lshlrev_b32_sdwa v25, v21, v126 dst_sel:DWORD dst_unused:UNUSED_PAD src0_sel:DWORD src1_sel:BYTE_0
	s_waitcnt lgkmcnt(0)
	s_barrier
	global_load_dwordx4 v[21:24], v25, s[12:13] offset:832
	s_nop 0
	global_load_dwordx4 v[25:28], v25, s[12:13] offset:816
	v_mul_lo_u16_e32 v29, 0x44, v99
	v_sub_u16_e32 v127, v80, v29
	v_lshlrev_b32_e32 v37, 5, v127
	v_lshrrev_b32_e32 v128, 22, v134
	global_load_dwordx4 v[29:32], v37, s[12:13] offset:832
	global_load_dwordx4 v[33:36], v37, s[12:13] offset:816
	v_mul_lo_u16_e32 v37, 0x44, v128
	v_sub_u16_e32 v129, v20, v37
	v_lshlrev_b32_e32 v20, 5, v129
	global_load_dwordx4 v[37:40], v20, s[12:13] offset:832
	global_load_dwordx4 v[41:44], v20, s[12:13] offset:816
	v_mul_u32_u24_sdwa v20, v137, s4 dst_sel:DWORD dst_unused:UNUSED_PAD src0_sel:WORD_0 src1_sel:DWORD
	v_lshrrev_b32_e32 v130, 22, v20
	v_mul_lo_u16_e32 v20, 0x44, v130
	v_sub_u16_e32 v131, v137, v20
	v_lshlrev_b32_e32 v20, 5, v131
	global_load_dwordx4 v[45:48], v20, s[12:13] offset:816
	global_load_dwordx4 v[49:52], v20, s[12:13] offset:832
	ds_read_b128 v[53:56], v216
	ds_read_b128 v[57:60], v216 offset:2720
	ds_read_b128 v[61:64], v216 offset:10880
	;; [unrolled: 1-line block ×11, first 2 shown]
	s_mov_b32 s4, 0xe8584caa
	s_mov_b32 s5, 0xbfebb67a
	;; [unrolled: 1-line block ×3, first 2 shown]
	s_waitcnt vmcnt(0) lgkmcnt(0)
	s_barrier
	v_mul_f64 v[93:94], v[71:72], v[23:24]
	v_mul_f64 v[77:78], v[63:64], v[27:28]
	;; [unrolled: 1-line block ×10, first 2 shown]
	v_fma_f64 v[61:62], v[61:62], v[25:26], v[77:78]
	v_fma_f64 v[25:26], v[63:64], v[25:26], -v[27:28]
	v_fma_f64 v[27:28], v[69:70], v[21:22], v[93:94]
	v_fma_f64 v[20:21], v[71:72], v[21:22], -v[23:24]
	v_mul_f64 v[118:119], v[91:92], v[43:44]
	v_mul_f64 v[43:44], v[89:90], v[43:44]
	v_fma_f64 v[22:23], v[65:66], v[33:34], v[114:115]
	v_fma_f64 v[63:64], v[67:68], v[33:34], -v[35:36]
	v_fma_f64 v[65:66], v[73:74], v[29:30], v[116:117]
	v_fma_f64 v[67:68], v[75:76], v[29:30], -v[31:32]
	v_add_f64 v[29:30], v[61:62], v[27:28]
	v_fma_f64 v[73:74], v[106:107], v[37:38], v[120:121]
	v_fma_f64 v[75:76], v[108:109], v[37:38], -v[39:40]
	v_add_f64 v[31:32], v[53:54], v[61:62]
	v_add_f64 v[36:37], v[25:26], v[20:21]
	v_add_f64 v[34:35], v[25:26], -v[20:21]
	v_add_f64 v[24:25], v[55:56], v[25:26]
	v_mul_f64 v[122:123], v[104:105], v[47:48]
	v_mul_f64 v[47:48], v[102:103], v[47:48]
	;; [unrolled: 1-line block ×4, first 2 shown]
	v_fma_f64 v[69:70], v[89:90], v[41:42], v[118:119]
	v_fma_f64 v[71:72], v[91:92], v[41:42], -v[43:44]
	v_fma_f64 v[38:39], v[29:30], -0.5, v[53:54]
	v_add_f64 v[40:41], v[61:62], -v[27:28]
	v_add_f64 v[42:43], v[22:23], v[65:66]
	v_add_f64 v[28:29], v[31:32], v[27:28]
	v_fma_f64 v[26:27], v[36:37], -0.5, v[55:56]
	v_add_f64 v[30:31], v[24:25], v[20:21]
	v_add_f64 v[20:21], v[63:64], v[67:68]
	;; [unrolled: 1-line block ×3, first 2 shown]
	v_fma_f64 v[77:78], v[102:103], v[45:46], v[122:123]
	v_fma_f64 v[89:90], v[104:105], v[45:46], -v[47:48]
	v_fma_f64 v[91:92], v[110:111], v[49:50], v[124:125]
	v_fma_f64 v[93:94], v[112:113], v[49:50], -v[51:52]
	v_fma_f64 v[32:33], v[34:35], s[4:5], v[38:39]
	v_fma_f64 v[36:37], v[34:35], s[6:7], v[38:39]
	v_fma_f64 v[42:43], v[42:43], -0.5, v[57:58]
	v_add_f64 v[46:47], v[63:64], -v[67:68]
	v_fma_f64 v[34:35], v[40:41], s[6:7], v[26:27]
	v_add_f64 v[48:49], v[69:70], v[73:74]
	v_fma_f64 v[38:39], v[40:41], s[4:5], v[26:27]
	v_add_f64 v[26:27], v[59:60], v[63:64]
	v_fma_f64 v[20:21], v[20:21], -0.5, v[59:60]
	v_add_f64 v[22:23], v[22:23], -v[65:66]
	v_add_f64 v[40:41], v[24:25], v[65:66]
	v_add_f64 v[24:25], v[81:82], v[69:70]
	v_fma_f64 v[44:45], v[46:47], s[4:5], v[42:43]
	v_fma_f64 v[54:55], v[48:49], -0.5, v[81:82]
	v_fma_f64 v[48:49], v[46:47], s[6:7], v[42:43]
	v_add_f64 v[42:43], v[26:27], v[67:68]
	v_add_f64 v[26:27], v[71:72], v[75:76]
	v_fma_f64 v[46:47], v[22:23], s[6:7], v[20:21]
	v_fma_f64 v[50:51], v[22:23], s[4:5], v[20:21]
	v_add_f64 v[20:21], v[77:78], v[91:92]
	v_add_f64 v[22:23], v[89:90], v[93:94]
	v_add_f64 v[58:59], v[71:72], -v[75:76]
	v_add_f64 v[52:53], v[24:25], v[73:74]
	v_add_f64 v[24:25], v[83:84], v[71:72]
	v_fma_f64 v[26:27], v[26:27], -0.5, v[83:84]
	v_add_f64 v[62:63], v[69:70], -v[73:74]
	v_add_f64 v[64:65], v[85:86], v[77:78]
	v_fma_f64 v[66:67], v[20:21], -0.5, v[85:86]
	v_add_f64 v[68:69], v[89:90], -v[93:94]
	;; [unrolled: 3-line block ×3, first 2 shown]
	v_fma_f64 v[56:57], v[58:59], s[4:5], v[54:55]
	v_fma_f64 v[60:61], v[58:59], s[6:7], v[54:55]
	v_add_f64 v[54:55], v[24:25], v[75:76]
	v_fma_f64 v[58:59], v[62:63], s[6:7], v[26:27]
	v_fma_f64 v[62:63], v[62:63], s[4:5], v[26:27]
	v_add_f64 v[64:65], v[64:65], v[91:92]
	;; [unrolled: 3-line block ×3, first 2 shown]
	v_mul_u32_u24_e32 v68, 0xcc0, v95
	v_lshlrev_b32_sdwa v69, v79, v126 dst_sel:DWORD dst_unused:UNUSED_PAD src0_sel:DWORD src1_sel:BYTE_0
	v_fma_f64 v[22:23], v[77:78], s[6:7], v[72:73]
	v_add3_u32 v68, 0, v68, v69
	v_fma_f64 v[26:27], v[77:78], s[4:5], v[72:73]
	ds_write_b128 v68, v[28:31]
	ds_write_b128 v68, v[32:35] offset:1088
	ds_write_b128 v68, v[36:39] offset:2176
	v_mul_u32_u24_e32 v28, 0xcc0, v99
	v_lshlrev_b32_e32 v29, 4, v127
	v_add3_u32 v28, 0, v28, v29
	ds_write_b128 v28, v[40:43]
	ds_write_b128 v28, v[44:47] offset:1088
	ds_write_b128 v28, v[48:51] offset:2176
	v_mul_u32_u24_e32 v28, 0xcc0, v128
	v_lshlrev_b32_e32 v29, 4, v129
	v_add3_u32 v28, 0, v28, v29
	ds_write_b128 v28, v[52:55]
	ds_write_b128 v28, v[56:59] offset:1088
	ds_write_b128 v28, v[60:63] offset:2176
	v_mul_u32_u24_e32 v28, 0xcc0, v130
	v_lshlrev_b32_e32 v29, 4, v131
	v_add3_u32 v28, 0, v28, v29
	ds_write_b128 v28, v[64:67]
	ds_write_b128 v28, v[20:23] offset:1088
	ds_write_b128 v28, v[24:27] offset:2176
	s_waitcnt lgkmcnt(0)
	s_barrier
	ds_read_b128 v[40:43], v216
	ds_read_b128 v[76:79], v216 offset:3264
	ds_read_b128 v[72:75], v216 offset:6528
	;; [unrolled: 1-line block ×9, first 2 shown]
                                        ; implicit-def: $vgpr34_vgpr35
                                        ; implicit-def: $vgpr38_vgpr39
                                        ; implicit-def: $vgpr30_vgpr31
	s_and_saveexec_b64 s[4:5], vcc
	s_cbranch_execz .LBB0_17
; %bb.16:
	ds_read_b128 v[20:23], v216 offset:2720
	ds_read_b128 v[24:27], v216 offset:5984
	;; [unrolled: 1-line block ×10, first 2 shown]
.LBB0_17:
	s_or_b64 exec, exec, s[4:5]
	v_mul_u32_u24_e32 v81, 9, v98
	v_lshlrev_b32_e32 v93, 4, v81
	global_load_dwordx4 v[81:84], v93, s[12:13] offset:2992
	global_load_dwordx4 v[85:88], v93, s[12:13] offset:3008
	;; [unrolled: 1-line block ×9, first 2 shown]
	s_mov_b32 s4, 0x134454ff
	s_mov_b32 s5, 0xbfee6f0e
	;; [unrolled: 1-line block ×16, first 2 shown]
	s_waitcnt vmcnt(0) lgkmcnt(0)
	s_barrier
	v_mul_f64 v[93:94], v[78:79], v[83:84]
	v_mul_f64 v[126:127], v[74:75], v[87:88]
	;; [unrolled: 1-line block ×12, first 2 shown]
	v_fma_f64 v[72:73], v[72:73], v[85:86], v[126:127]
	v_fma_f64 v[64:65], v[64:65], v[102:103], v[130:131]
	;; [unrolled: 1-line block ×4, first 2 shown]
	v_mul_f64 v[128:129], v[70:71], v[91:92]
	v_mul_f64 v[91:92], v[68:69], v[91:92]
	;; [unrolled: 1-line block ×6, first 2 shown]
	v_fma_f64 v[76:77], v[76:77], v[81:82], v[93:94]
	v_fma_f64 v[78:79], v[78:79], v[81:82], -v[83:84]
	v_fma_f64 v[74:75], v[74:75], v[85:86], -v[87:88]
	;; [unrolled: 1-line block ×3, first 2 shown]
	v_fma_f64 v[60:61], v[60:61], v[106:107], v[132:133]
	v_fma_f64 v[58:59], v[58:59], v[110:111], -v[112:113]
	v_fma_f64 v[54:55], v[54:55], v[118:119], -v[120:121]
	v_fma_f64 v[48:49], v[48:49], v[114:115], v[136:137]
	v_add_f64 v[81:82], v[40:41], v[72:73]
	v_add_f64 v[83:84], v[64:65], v[56:57]
	;; [unrolled: 1-line block ×3, first 2 shown]
	v_fma_f64 v[68:69], v[68:69], v[89:90], v[128:129]
	v_fma_f64 v[70:71], v[70:71], v[89:90], -v[91:92]
	v_fma_f64 v[62:63], v[62:63], v[106:107], -v[108:109]
	;; [unrolled: 1-line block ×3, first 2 shown]
	v_fma_f64 v[44:45], v[44:45], v[122:123], v[140:141]
	v_fma_f64 v[46:47], v[46:47], v[122:123], -v[124:125]
	v_add_f64 v[85:86], v[74:75], -v[54:55]
	v_add_f64 v[87:88], v[66:67], -v[58:59]
	;; [unrolled: 1-line block ×6, first 2 shown]
	v_add_f64 v[106:107], v[42:43], v[74:75]
	v_add_f64 v[108:109], v[66:67], v[58:59]
	v_add_f64 v[110:111], v[64:65], -v[56:57]
	v_add_f64 v[112:113], v[74:75], -v[66:67]
	;; [unrolled: 1-line block ×3, first 2 shown]
	v_add_f64 v[116:117], v[74:75], v[54:55]
	v_add_f64 v[122:123], v[60:61], v[48:49]
	;; [unrolled: 1-line block ×3, first 2 shown]
	v_fma_f64 v[81:82], v[83:84], -0.5, v[40:41]
	v_fma_f64 v[40:41], v[93:94], -0.5, v[40:41]
	v_add_f64 v[72:73], v[72:73], -v[52:53]
	v_add_f64 v[74:75], v[66:67], -v[74:75]
	;; [unrolled: 1-line block ×4, first 2 shown]
	v_add_f64 v[83:84], v[89:90], v[91:92]
	v_add_f64 v[89:90], v[102:103], v[104:105]
	;; [unrolled: 1-line block ×3, first 2 shown]
	v_fma_f64 v[91:92], v[108:109], -0.5, v[42:43]
	v_add_f64 v[93:94], v[112:113], v[114:115]
	v_fma_f64 v[42:43], v[116:117], -0.5, v[42:43]
	v_fma_f64 v[104:105], v[122:123], -0.5, v[76:77]
	v_add_f64 v[56:57], v[64:65], v[56:57]
	v_fma_f64 v[64:65], v[85:86], s[4:5], v[81:82]
	v_fma_f64 v[112:113], v[87:88], s[14:15], v[40:41]
	;; [unrolled: 1-line block ×3, first 2 shown]
	v_add_f64 v[120:121], v[76:77], v[68:69]
	v_add_f64 v[126:127], v[62:63], -v[50:51]
	v_add_f64 v[128:129], v[68:69], -v[60:61]
	;; [unrolled: 1-line block ×3, first 2 shown]
	v_add_f64 v[134:135], v[62:63], v[50:51]
	v_add_f64 v[74:75], v[74:75], v[118:119]
	v_fma_f64 v[81:82], v[85:86], s[14:15], v[81:82]
	v_add_f64 v[58:59], v[66:67], v[58:59]
	v_fma_f64 v[66:67], v[72:73], s[14:15], v[91:92]
	v_fma_f64 v[91:92], v[72:73], s[4:5], v[91:92]
	;; [unrolled: 1-line block ×5, first 2 shown]
	v_add_f64 v[118:119], v[56:57], v[52:53]
	v_fma_f64 v[52:53], v[87:88], s[6:7], v[64:65]
	v_fma_f64 v[64:65], v[85:86], s[6:7], v[112:113]
	;; [unrolled: 1-line block ×3, first 2 shown]
	v_add_f64 v[102:103], v[120:121], v[60:61]
	v_add_f64 v[132:133], v[68:69], v[44:45]
	v_add_f64 v[136:137], v[68:69], -v[44:45]
	v_add_f64 v[106:107], v[128:129], v[130:131]
	v_fma_f64 v[108:109], v[134:135], -0.5, v[78:79]
	v_fma_f64 v[56:57], v[87:88], s[16:17], v[81:82]
	v_add_f64 v[81:82], v[58:59], v[54:55]
	v_fma_f64 v[54:55], v[110:111], s[16:17], v[66:67]
	v_fma_f64 v[58:59], v[110:111], s[6:7], v[91:92]
	;; [unrolled: 1-line block ×7, first 2 shown]
	v_add_f64 v[40:41], v[70:71], v[46:47]
	v_add_f64 v[102:103], v[102:103], v[48:49]
	v_fma_f64 v[76:77], v[132:133], -0.5, v[76:77]
	v_fma_f64 v[85:86], v[83:84], s[8:9], v[52:53]
	v_fma_f64 v[83:84], v[83:84], s[8:9], v[56:57]
	;; [unrolled: 1-line block ×7, first 2 shown]
	v_add_f64 v[58:59], v[60:61], -v[48:49]
	v_add_f64 v[66:67], v[70:71], -v[62:63]
	v_add_f64 v[72:73], v[46:47], -v[50:51]
	v_fma_f64 v[40:41], v[40:41], -0.5, v[78:79]
	v_add_f64 v[64:65], v[102:103], v[44:45]
	v_add_f64 v[44:45], v[48:49], -v[44:45]
	v_add_f64 v[48:49], v[78:79], v[70:71]
	v_fma_f64 v[74:75], v[74:75], s[8:9], v[42:43]
	v_fma_f64 v[42:43], v[126:127], s[14:15], v[76:77]
	v_add_f64 v[60:61], v[60:61], -v[68:69]
	v_fma_f64 v[68:69], v[126:127], s[4:5], v[76:77]
	v_fma_f64 v[56:57], v[58:59], s[16:17], v[56:57]
	v_add_f64 v[66:67], v[66:67], v[72:73]
	v_fma_f64 v[72:73], v[58:59], s[4:5], v[40:41]
	v_add_f64 v[70:71], v[62:63], -v[70:71]
	v_add_f64 v[76:77], v[50:51], -v[46:47]
	v_fma_f64 v[40:41], v[58:59], s[14:15], v[40:41]
	v_add_f64 v[48:49], v[48:49], v[62:63]
	v_fma_f64 v[62:63], v[136:137], s[4:5], v[108:109]
	v_fma_f64 v[42:43], v[124:125], s[6:7], v[42:43]
	v_add_f64 v[44:45], v[60:61], v[44:45]
	v_fma_f64 v[60:61], v[124:125], s[16:17], v[68:69]
	v_fma_f64 v[56:57], v[66:67], s[8:9], v[56:57]
	;; [unrolled: 1-line block ×3, first 2 shown]
	v_add_f64 v[70:71], v[70:71], v[76:77]
	v_fma_f64 v[40:41], v[136:137], s[6:7], v[40:41]
	v_fma_f64 v[104:105], v[124:125], s[14:15], v[104:105]
	v_add_f64 v[48:49], v[48:49], v[50:51]
	v_fma_f64 v[50:51], v[58:59], s[6:7], v[62:63]
	v_fma_f64 v[42:43], v[44:45], s[8:9], v[42:43]
	;; [unrolled: 1-line block ×3, first 2 shown]
	v_mul_f64 v[44:45], v[56:57], s[6:7]
	v_fma_f64 v[60:61], v[70:71], s[8:9], v[68:69]
	v_fma_f64 v[62:63], v[70:71], s[8:9], v[40:41]
	;; [unrolled: 1-line block ×3, first 2 shown]
	v_add_f64 v[70:71], v[48:49], v[46:47]
	v_fma_f64 v[46:47], v[66:67], s[8:9], v[50:51]
	v_mul_f64 v[56:57], v[56:57], s[18:19]
	v_add_f64 v[40:41], v[118:119], v[64:65]
	v_fma_f64 v[66:67], v[52:53], s[18:19], v[44:45]
	v_mul_f64 v[44:45], v[60:61], s[4:5]
	v_mul_f64 v[60:61], v[60:61], s[8:9]
	;; [unrolled: 1-line block ×4, first 2 shown]
	v_fma_f64 v[54:55], v[106:107], s[8:9], v[54:55]
	v_mul_f64 v[50:51], v[46:47], s[6:7]
	v_mul_f64 v[46:47], v[46:47], s[22:23]
	v_fma_f64 v[78:79], v[52:53], s[16:17], v[56:57]
	v_fma_f64 v[68:69], v[42:43], s[8:9], v[44:45]
	;; [unrolled: 1-line block ×5, first 2 shown]
	v_add_f64 v[42:43], v[81:82], v[70:71]
	v_fma_f64 v[76:77], v[54:55], s[22:23], v[50:51]
	v_fma_f64 v[106:107], v[54:55], s[16:17], v[46:47]
	v_add_f64 v[44:45], v[85:86], v[66:67]
	v_add_f64 v[46:47], v[91:92], v[78:79]
	v_add_f64 v[48:49], v[87:88], v[68:69]
	v_add_f64 v[50:51], v[110:111], v[102:103]
	v_add_f64 v[52:53], v[89:90], v[72:73]
	v_add_f64 v[54:55], v[74:75], v[104:105]
	v_add_f64 v[56:57], v[83:84], v[76:77]
	v_add_f64 v[58:59], v[93:94], v[106:107]
	v_add_f64 v[60:61], v[118:119], -v[64:65]
	v_add_f64 v[62:63], v[81:82], -v[70:71]
	;; [unrolled: 1-line block ×10, first 2 shown]
	ds_write_b128 v216, v[40:43]
	ds_write_b128 v216, v[44:47] offset:3264
	ds_write_b128 v216, v[48:51] offset:6528
	;; [unrolled: 1-line block ×9, first 2 shown]
	s_and_saveexec_b64 s[24:25], vcc
	s_cbranch_execz .LBB0_19
; %bb.18:
	v_subrev_u32_e32 v40, 34, v98
	v_cndmask_b32_e32 v40, v40, v80, vcc
	v_mul_i32_i24_e32 v40, 9, v40
	v_mov_b32_e32 v41, 0
	v_lshlrev_b64 v[40:41], 4, v[40:41]
	v_mov_b32_e32 v42, s13
	v_add_co_u32_e32 v76, vcc, s12, v40
	v_addc_co_u32_e32 v77, vcc, v42, v41, vcc
	global_load_dwordx4 v[40:43], v[76:77], off offset:3008
	global_load_dwordx4 v[44:47], v[76:77], off offset:3040
	;; [unrolled: 1-line block ×9, first 2 shown]
	s_waitcnt vmcnt(8)
	v_mul_f64 v[76:77], v[16:17], v[42:43]
	s_waitcnt vmcnt(7)
	v_mul_f64 v[78:79], v[8:9], v[46:47]
	;; [unrolled: 2-line block ×8, first 2 shown]
	v_mul_f64 v[62:63], v[4:5], v[62:63]
	v_mul_f64 v[70:71], v[28:29], v[70:71]
	;; [unrolled: 1-line block ×8, first 2 shown]
	s_waitcnt vmcnt(0)
	v_mul_f64 v[92:93], v[26:27], v[74:75]
	v_mul_f64 v[74:75], v[24:25], v[74:75]
	v_fma_f64 v[18:19], v[18:19], v[40:41], -v[76:77]
	v_fma_f64 v[10:11], v[10:11], v[44:45], -v[78:79]
	;; [unrolled: 1-line block ×4, first 2 shown]
	v_fma_f64 v[12:13], v[12:13], v[56:57], v[84:85]
	v_fma_f64 v[4:5], v[4:5], v[60:61], v[86:87]
	;; [unrolled: 1-line block ×4, first 2 shown]
	v_fma_f64 v[6:7], v[6:7], v[60:61], -v[62:63]
	v_fma_f64 v[30:31], v[30:31], v[68:69], -v[70:71]
	;; [unrolled: 1-line block ×4, first 2 shown]
	v_fma_f64 v[16:17], v[16:17], v[40:41], v[42:43]
	v_fma_f64 v[36:37], v[36:37], v[48:49], v[50:51]
	;; [unrolled: 1-line block ×5, first 2 shown]
	v_fma_f64 v[26:27], v[26:27], v[72:73], -v[74:75]
	v_add_f64 v[40:41], v[18:19], -v[10:11]
	v_add_f64 v[42:43], v[38:39], -v[2:3]
	v_add_f64 v[44:45], v[10:11], v[2:3]
	v_add_f64 v[50:51], v[12:13], -v[4:5]
	v_add_f64 v[52:53], v[32:33], -v[28:29]
	v_add_f64 v[56:57], v[4:5], v[28:29]
	v_add_f64 v[64:65], v[6:7], v[30:31]
	;; [unrolled: 1-line block ×4, first 2 shown]
	v_add_f64 v[46:47], v[16:17], -v[36:37]
	v_add_f64 v[48:49], v[8:9], -v[0:1]
	;; [unrolled: 1-line block ×13, first 2 shown]
	v_add_f64 v[88:89], v[22:23], v[18:19]
	v_add_f64 v[14:15], v[26:27], v[14:15]
	v_add_f64 v[102:103], v[18:19], -v[38:39]
	v_add_f64 v[18:19], v[8:9], v[0:1]
	v_add_f64 v[40:41], v[40:41], v[42:43]
	v_fma_f64 v[42:43], v[44:45], -0.5, v[22:23]
	v_add_f64 v[44:45], v[50:51], v[52:53]
	v_fma_f64 v[50:51], v[56:57], -0.5, v[24:25]
	v_fma_f64 v[56:57], v[64:65], -0.5, v[26:27]
	;; [unrolled: 1-line block ×4, first 2 shown]
	v_add_f64 v[80:81], v[12:13], v[32:33]
	v_add_f64 v[54:55], v[6:7], -v[30:31]
	v_add_f64 v[94:95], v[10:11], -v[2:3]
	v_add_f64 v[106:107], v[16:17], v[36:37]
	v_add_f64 v[52:53], v[60:61], v[62:63]
	;; [unrolled: 1-line block ×7, first 2 shown]
	v_fma_f64 v[72:73], v[18:19], -0.5, v[20:21]
	v_fma_f64 v[14:15], v[46:47], s[4:5], v[42:43]
	v_fma_f64 v[18:19], v[58:59], s[14:15], v[50:51]
	;; [unrolled: 1-line block ×6, first 2 shown]
	v_fma_f64 v[64:65], v[80:81], -0.5, v[24:25]
	v_fma_f64 v[74:75], v[106:107], -0.5, v[20:21]
	v_fma_f64 v[22:23], v[48:49], s[4:5], v[22:23]
	v_fma_f64 v[42:43], v[46:47], s[14:15], v[42:43]
	;; [unrolled: 1-line block ×4, first 2 shown]
	v_add_f64 v[2:3], v[10:11], v[2:3]
	v_add_f64 v[6:7], v[6:7], v[30:31]
	v_fma_f64 v[10:11], v[48:49], s[6:7], v[14:15]
	v_fma_f64 v[14:15], v[54:55], s[16:17], v[18:19]
	v_fma_f64 v[18:19], v[68:69], s[6:7], v[76:77]
	v_fma_f64 v[30:31], v[46:47], s[6:7], v[78:79]
	v_fma_f64 v[78:79], v[66:67], s[6:7], v[82:83]
	v_fma_f64 v[26:27], v[66:67], s[16:17], v[26:27]
	v_add_f64 v[90:91], v[16:17], -v[8:9]
	v_add_f64 v[104:105], v[8:9], -v[16:17]
	v_fma_f64 v[80:81], v[54:55], s[4:5], v[64:65]
	v_add_f64 v[16:17], v[20:21], v[16:17]
	v_add_f64 v[12:13], v[24:25], v[12:13]
	v_fma_f64 v[64:65], v[54:55], s[14:15], v[64:65]
	v_fma_f64 v[22:23], v[46:47], s[16:17], v[22:23]
	;; [unrolled: 1-line block ×8, first 2 shown]
	v_add_f64 v[66:67], v[6:7], v[34:35]
	v_add_f64 v[34:35], v[0:1], -v[36:37]
	v_fma_f64 v[70:71], v[94:95], s[4:5], v[74:75]
	v_fma_f64 v[76:77], v[58:59], s[16:17], v[80:81]
	v_add_f64 v[8:9], v[16:17], v[8:9]
	v_add_f64 v[4:5], v[12:13], v[4:5]
	v_add_f64 v[92:93], v[36:37], -v[0:1]
	v_add_f64 v[38:39], v[2:3], v[38:39]
	v_fma_f64 v[46:47], v[52:53], s[8:9], v[46:47]
	v_fma_f64 v[52:53], v[44:45], s[8:9], v[14:15]
	v_mul_f64 v[2:3], v[50:51], s[22:23]
	v_mul_f64 v[20:21], v[50:51], s[6:7]
	v_add_f64 v[24:25], v[104:105], v[34:35]
	v_fma_f64 v[34:35], v[102:103], s[16:17], v[70:71]
	v_fma_f64 v[70:71], v[102:103], s[4:5], v[72:73]
	;; [unrolled: 1-line block ×3, first 2 shown]
	v_mul_f64 v[14:15], v[54:55], s[20:21]
	v_mul_f64 v[50:51], v[54:55], s[4:5]
	v_fma_f64 v[54:55], v[94:95], s[14:15], v[74:75]
	v_fma_f64 v[68:69], v[102:103], s[14:15], v[72:73]
	v_fma_f64 v[58:59], v[62:63], s[8:9], v[76:77]
	v_add_f64 v[8:9], v[8:9], v[0:1]
	v_add_f64 v[28:29], v[4:5], v[28:29]
	v_fma_f64 v[44:45], v[44:45], s[8:9], v[48:49]
	v_mul_f64 v[48:49], v[46:47], s[18:19]
	v_fma_f64 v[30:31], v[60:61], s[8:9], v[30:31]
	v_fma_f64 v[60:61], v[60:61], s[8:9], v[22:23]
	;; [unrolled: 1-line block ×3, first 2 shown]
	v_add_f64 v[76:77], v[90:91], v[92:93]
	v_fma_f64 v[16:17], v[52:53], s[22:23], v[20:21]
	v_fma_f64 v[52:53], v[94:95], s[6:7], v[70:71]
	v_mul_f64 v[46:47], v[46:47], s[6:7]
	v_fma_f64 v[56:57], v[62:63], s[8:9], v[56:57]
	v_mul_f64 v[18:19], v[26:27], s[8:9]
	v_fma_f64 v[20:21], v[24:25], s[8:9], v[34:35]
	v_fma_f64 v[34:35], v[102:103], s[6:7], v[54:55]
	v_mul_f64 v[26:27], v[26:27], s[4:5]
	v_fma_f64 v[68:69], v[94:95], s[16:17], v[68:69]
	v_fma_f64 v[62:63], v[40:41], s[8:9], v[10:11]
	;; [unrolled: 1-line block ×5, first 2 shown]
	v_add_f64 v[8:9], v[8:9], v[36:37]
	v_add_f64 v[58:59], v[28:29], v[32:33]
	v_fma_f64 v[48:49], v[44:45], s[16:17], v[48:49]
	v_fma_f64 v[52:53], v[76:77], s[8:9], v[52:53]
	;; [unrolled: 1-line block ×7, first 2 shown]
	v_add_f64 v[18:19], v[38:39], -v[66:67]
	v_add_f64 v[38:39], v[38:39], v[66:67]
	v_add_f64 v[36:37], v[8:9], v[58:59]
	;; [unrolled: 1-line block ×4, first 2 shown]
	v_add_f64 v[6:7], v[30:31], -v[42:43]
	v_add_f64 v[26:27], v[30:31], v[42:43]
	v_add_f64 v[30:31], v[60:61], v[64:65]
	v_add_f64 v[28:29], v[54:55], v[46:47]
	v_add_f64 v[24:25], v[20:21], v[50:51]
	v_add_f64 v[2:3], v[62:63], -v[22:23]
	v_add_f64 v[4:5], v[20:21], -v[50:51]
	v_add_f64 v[22:23], v[62:63], v[22:23]
	v_add_f64 v[20:21], v[12:13], v[16:17]
	v_add_f64 v[0:1], v[12:13], -v[16:17]
	v_add_f64 v[16:17], v[8:9], -v[58:59]
	;; [unrolled: 1-line block ×6, first 2 shown]
	ds_write_b128 v216, v[36:39] offset:2720
	ds_write_b128 v216, v[32:35] offset:5984
	;; [unrolled: 1-line block ×10, first 2 shown]
.LBB0_19:
	s_or_b64 exec, exec, s[24:25]
	s_waitcnt lgkmcnt(0)
	s_barrier
	ds_read_b128 v[4:7], v216
	s_add_u32 s6, s12, 0x7e70
	v_lshlrev_b32_e32 v0, 4, v98
	s_addc_u32 s7, s13, 0
	v_sub_u32_e32 v14, 0, v0
	v_cmp_ne_u32_e32 vcc, 0, v98
                                        ; implicit-def: $vgpr0_vgpr1
                                        ; implicit-def: $vgpr8_vgpr9
                                        ; implicit-def: $vgpr10_vgpr11
                                        ; implicit-def: $vgpr12_vgpr13
	s_and_saveexec_b64 s[4:5], vcc
	s_xor_b64 s[4:5], exec, s[4:5]
	s_cbranch_execz .LBB0_21
; %bb.20:
	v_mov_b32_e32 v99, 0
	v_lshlrev_b64 v[0:1], 4, v[98:99]
	v_mov_b32_e32 v2, s7
	v_add_co_u32_e32 v0, vcc, s6, v0
	v_addc_co_u32_e32 v1, vcc, v2, v1, vcc
	global_load_dwordx4 v[15:18], v[0:1], off
	ds_read_b128 v[0:3], v14 offset:32640
	s_waitcnt lgkmcnt(0)
	v_add_f64 v[8:9], v[4:5], -v[0:1]
	v_add_f64 v[10:11], v[6:7], v[2:3]
	v_add_f64 v[2:3], v[6:7], -v[2:3]
	v_add_f64 v[0:1], v[4:5], v[0:1]
	v_mul_f64 v[6:7], v[8:9], 0.5
	v_mul_f64 v[4:5], v[10:11], 0.5
	;; [unrolled: 1-line block ×3, first 2 shown]
	s_waitcnt vmcnt(0)
	v_mul_f64 v[8:9], v[6:7], v[17:18]
	v_fma_f64 v[10:11], v[4:5], v[17:18], v[2:3]
	v_fma_f64 v[2:3], v[4:5], v[17:18], -v[2:3]
	v_fma_f64 v[12:13], v[0:1], 0.5, v[8:9]
	v_fma_f64 v[0:1], v[0:1], 0.5, -v[8:9]
	v_fma_f64 v[10:11], -v[15:16], v[6:7], v[10:11]
	v_fma_f64 v[2:3], -v[15:16], v[6:7], v[2:3]
	v_fma_f64 v[8:9], v[4:5], v[15:16], v[12:13]
	v_mov_b32_e32 v12, v98
	v_fma_f64 v[0:1], -v[4:5], v[15:16], v[0:1]
	v_mov_b32_e32 v13, v99
                                        ; implicit-def: $vgpr4_vgpr5
.LBB0_21:
	s_andn2_saveexec_b64 s[4:5], s[4:5]
	s_cbranch_execz .LBB0_23
; %bb.22:
	s_waitcnt lgkmcnt(0)
	v_add_f64 v[8:9], v[4:5], v[6:7]
	v_add_f64 v[0:1], v[4:5], -v[6:7]
	v_mov_b32_e32 v4, 0
	ds_read_b64 v[2:3], v4 offset:16328
	v_mov_b32_e32 v10, 0
	v_mov_b32_e32 v12, 0
	;; [unrolled: 1-line block ×4, first 2 shown]
	s_waitcnt lgkmcnt(0)
	v_xor_b32_e32 v3, 0x80000000, v3
	ds_write_b64 v4, v[2:3] offset:16328
	v_mov_b32_e32 v2, v10
	v_mov_b32_e32 v3, v11
.LBB0_23:
	s_or_b64 exec, exec, s[4:5]
	s_waitcnt lgkmcnt(0)
	v_lshlrev_b64 v[4:5], 4, v[12:13]
	v_mov_b32_e32 v6, s7
	v_add_co_u32_e32 v12, vcc, s6, v4
	v_addc_co_u32_e32 v13, vcc, v6, v5, vcc
	global_load_dwordx4 v[4:7], v[12:13], off offset:2720
	s_movk_i32 s4, 0x1000
	v_add_co_u32_e32 v19, vcc, s4, v12
	v_addc_co_u32_e32 v20, vcc, 0, v13, vcc
	global_load_dwordx4 v[15:18], v[19:20], off offset:1344
	ds_write2_b64 v216, v[8:9], v[10:11] offset1:1
	ds_write_b128 v14, v[0:3] offset:32640
	ds_read_b128 v[0:3], v216 offset:2720
	ds_read_b128 v[8:11], v14 offset:29920
	s_movk_i32 s4, 0x2000
	s_waitcnt lgkmcnt(0)
	v_add_f64 v[21:22], v[0:1], -v[8:9]
	v_add_f64 v[23:24], v[2:3], v[10:11]
	v_add_f64 v[2:3], v[2:3], -v[10:11]
	v_add_f64 v[0:1], v[0:1], v[8:9]
	v_mul_f64 v[10:11], v[21:22], 0.5
	v_mul_f64 v[21:22], v[23:24], 0.5
	;; [unrolled: 1-line block ×3, first 2 shown]
	s_waitcnt vmcnt(1)
	v_mul_f64 v[8:9], v[10:11], v[6:7]
	v_fma_f64 v[23:24], v[21:22], v[6:7], v[2:3]
	v_fma_f64 v[6:7], v[21:22], v[6:7], -v[2:3]
	v_fma_f64 v[25:26], v[0:1], 0.5, v[8:9]
	v_fma_f64 v[8:9], v[0:1], 0.5, -v[8:9]
	global_load_dwordx4 v[0:3], v[19:20], off offset:4064
	v_fma_f64 v[19:20], -v[4:5], v[10:11], v[23:24]
	v_fma_f64 v[6:7], -v[4:5], v[10:11], v[6:7]
	v_fma_f64 v[10:11], v[21:22], v[4:5], v[25:26]
	v_fma_f64 v[4:5], -v[21:22], v[4:5], v[8:9]
	v_add_u32_e32 v8, 0x800, v216
	ds_write2_b64 v8, v[10:11], v[19:20] offset0:84 offset1:85
	ds_write_b128 v14, v[4:7] offset:29920
	ds_read_b128 v[4:7], v216 offset:5440
	ds_read_b128 v[8:11], v14 offset:27200
	s_waitcnt lgkmcnt(0)
	v_add_f64 v[19:20], v[4:5], -v[8:9]
	v_add_f64 v[21:22], v[6:7], v[10:11]
	v_add_f64 v[6:7], v[6:7], -v[10:11]
	v_add_f64 v[4:5], v[4:5], v[8:9]
	v_mul_f64 v[10:11], v[19:20], 0.5
	v_mul_f64 v[19:20], v[21:22], 0.5
	;; [unrolled: 1-line block ×3, first 2 shown]
	s_waitcnt vmcnt(1)
	v_mul_f64 v[8:9], v[10:11], v[17:18]
	v_fma_f64 v[21:22], v[19:20], v[17:18], v[6:7]
	v_fma_f64 v[17:18], v[19:20], v[17:18], -v[6:7]
	v_fma_f64 v[23:24], v[4:5], 0.5, v[8:9]
	v_fma_f64 v[8:9], v[4:5], 0.5, -v[8:9]
	v_add_co_u32_e32 v4, vcc, s4, v12
	v_addc_co_u32_e32 v5, vcc, 0, v13, vcc
	global_load_dwordx4 v[4:7], v[4:5], off offset:2688
	v_fma_f64 v[21:22], -v[15:16], v[10:11], v[21:22]
	v_fma_f64 v[10:11], -v[15:16], v[10:11], v[17:18]
	v_fma_f64 v[17:18], v[19:20], v[15:16], v[23:24]
	v_fma_f64 v[8:9], -v[19:20], v[15:16], v[8:9]
	v_add_u32_e32 v15, 0x1000, v216
	s_movk_i32 s4, 0x3000
	ds_write2_b64 v15, v[17:18], v[21:22] offset0:168 offset1:169
	ds_write_b128 v14, v[8:11] offset:27200
	ds_read_b128 v[8:11], v216 offset:8160
	ds_read_b128 v[15:18], v14 offset:24480
	s_waitcnt lgkmcnt(0)
	v_add_f64 v[19:20], v[8:9], -v[15:16]
	v_add_f64 v[21:22], v[10:11], v[17:18]
	v_add_f64 v[10:11], v[10:11], -v[17:18]
	v_add_f64 v[8:9], v[8:9], v[15:16]
	v_mul_f64 v[17:18], v[19:20], 0.5
	v_mul_f64 v[19:20], v[21:22], 0.5
	;; [unrolled: 1-line block ×3, first 2 shown]
	s_waitcnt vmcnt(1)
	v_mul_f64 v[15:16], v[17:18], v[2:3]
	v_fma_f64 v[21:22], v[19:20], v[2:3], v[10:11]
	v_fma_f64 v[2:3], v[19:20], v[2:3], -v[10:11]
	v_fma_f64 v[23:24], v[8:9], 0.5, v[15:16]
	v_fma_f64 v[15:16], v[8:9], 0.5, -v[15:16]
	v_add_co_u32_e32 v8, vcc, s4, v12
	v_addc_co_u32_e32 v9, vcc, 0, v13, vcc
	global_load_dwordx4 v[8:11], v[8:9], off offset:1312
	v_fma_f64 v[12:13], -v[0:1], v[17:18], v[21:22]
	v_fma_f64 v[2:3], -v[0:1], v[17:18], v[2:3]
	v_fma_f64 v[17:18], v[19:20], v[0:1], v[23:24]
	v_fma_f64 v[0:1], -v[19:20], v[0:1], v[15:16]
	v_add_u32_e32 v15, 0x1800, v216
	ds_write2_b64 v15, v[17:18], v[12:13] offset0:252 offset1:253
	ds_write_b128 v14, v[0:3] offset:24480
	ds_read_b128 v[0:3], v216 offset:10880
	ds_read_b128 v[15:18], v14 offset:21760
	s_waitcnt lgkmcnt(0)
	v_add_f64 v[12:13], v[0:1], -v[15:16]
	v_add_f64 v[19:20], v[2:3], v[17:18]
	v_add_f64 v[2:3], v[2:3], -v[17:18]
	v_add_f64 v[0:1], v[0:1], v[15:16]
	v_mul_f64 v[12:13], v[12:13], 0.5
	v_mul_f64 v[17:18], v[19:20], 0.5
	;; [unrolled: 1-line block ×3, first 2 shown]
	s_waitcnt vmcnt(1)
	v_mul_f64 v[15:16], v[12:13], v[6:7]
	v_fma_f64 v[19:20], v[17:18], v[6:7], v[2:3]
	v_fma_f64 v[2:3], v[17:18], v[6:7], -v[2:3]
	v_fma_f64 v[6:7], v[0:1], 0.5, v[15:16]
	v_fma_f64 v[0:1], v[0:1], 0.5, -v[15:16]
	v_fma_f64 v[15:16], -v[4:5], v[12:13], v[19:20]
	v_fma_f64 v[2:3], -v[4:5], v[12:13], v[2:3]
	v_fma_f64 v[6:7], v[17:18], v[4:5], v[6:7]
	v_fma_f64 v[0:1], -v[17:18], v[4:5], v[0:1]
	v_add_u32_e32 v4, 0x2800, v216
	ds_write2_b64 v4, v[6:7], v[15:16] offset0:80 offset1:81
	ds_write_b128 v14, v[0:3] offset:21760
	ds_read_b128 v[0:3], v216 offset:13600
	ds_read_b128 v[4:7], v14 offset:19040
	s_waitcnt lgkmcnt(0)
	v_add_f64 v[12:13], v[0:1], -v[4:5]
	v_add_f64 v[15:16], v[2:3], v[6:7]
	v_add_f64 v[2:3], v[2:3], -v[6:7]
	v_add_f64 v[0:1], v[0:1], v[4:5]
	v_mul_f64 v[6:7], v[12:13], 0.5
	v_mul_f64 v[12:13], v[15:16], 0.5
	v_mul_f64 v[2:3], v[2:3], 0.5
	s_waitcnt vmcnt(0)
	v_mul_f64 v[4:5], v[6:7], v[10:11]
	v_fma_f64 v[15:16], v[12:13], v[10:11], v[2:3]
	v_fma_f64 v[2:3], v[12:13], v[10:11], -v[2:3]
	v_fma_f64 v[10:11], v[0:1], 0.5, v[4:5]
	v_fma_f64 v[0:1], v[0:1], 0.5, -v[4:5]
	v_fma_f64 v[4:5], -v[8:9], v[6:7], v[15:16]
	v_fma_f64 v[2:3], -v[8:9], v[6:7], v[2:3]
	v_fma_f64 v[6:7], v[12:13], v[8:9], v[10:11]
	v_fma_f64 v[0:1], -v[12:13], v[8:9], v[0:1]
	v_add_u32_e32 v8, 0x3000, v216
	ds_write2_b64 v8, v[6:7], v[4:5] offset0:164 offset1:165
	ds_write_b128 v14, v[0:3] offset:19040
	s_waitcnt lgkmcnt(0)
	s_barrier
	s_and_saveexec_b64 s[4:5], s[0:1]
	s_cbranch_execz .LBB0_26
; %bb.24:
	v_mul_lo_u32 v2, s3, v100
	v_mul_lo_u32 v3, s2, v101
	v_mad_u64_u32 v[0:1], s[0:1], s2, v100, 0
	v_mov_b32_e32 v6, s11
	v_lshl_add_u32 v12, v98, 4, 0
	v_add3_u32 v1, v1, v3, v2
	v_lshlrev_b64 v[0:1], 4, v[0:1]
	v_mov_b32_e32 v99, 0
	v_add_co_u32_e32 v0, vcc, s10, v0
	v_addc_co_u32_e32 v8, vcc, v6, v1, vcc
	v_lshlrev_b64 v[6:7], 4, v[96:97]
	ds_read_b128 v[2:5], v12
	v_add_co_u32_e32 v1, vcc, v0, v6
	v_addc_co_u32_e32 v0, vcc, v8, v7, vcc
	v_lshlrev_b64 v[6:7], 4, v[98:99]
	s_movk_i32 s0, 0xa9
	v_add_co_u32_e32 v10, vcc, v1, v6
	v_addc_co_u32_e32 v11, vcc, v0, v7, vcc
	ds_read_b128 v[6:9], v12 offset:2720
	s_waitcnt lgkmcnt(1)
	global_store_dwordx4 v[10:11], v[2:5], off
	s_nop 0
	v_add_u32_e32 v2, 0xaa, v98
	v_mov_b32_e32 v3, v99
	v_lshlrev_b64 v[2:3], 4, v[2:3]
	v_add_co_u32_e32 v2, vcc, v1, v2
	v_addc_co_u32_e32 v3, vcc, v0, v3, vcc
	s_waitcnt lgkmcnt(0)
	global_store_dwordx4 v[2:3], v[6:9], off
	ds_read_b128 v[2:5], v12 offset:5440
	v_add_u32_e32 v6, 0x154, v98
	v_mov_b32_e32 v7, v99
	v_lshlrev_b64 v[6:7], 4, v[6:7]
	v_add_co_u32_e32 v10, vcc, v1, v6
	v_addc_co_u32_e32 v11, vcc, v0, v7, vcc
	ds_read_b128 v[6:9], v12 offset:8160
	s_waitcnt lgkmcnt(1)
	global_store_dwordx4 v[10:11], v[2:5], off
	s_nop 0
	v_add_u32_e32 v2, 0x1fe, v98
	v_mov_b32_e32 v3, v99
	v_lshlrev_b64 v[2:3], 4, v[2:3]
	v_add_co_u32_e32 v2, vcc, v1, v2
	v_addc_co_u32_e32 v3, vcc, v0, v3, vcc
	s_waitcnt lgkmcnt(0)
	global_store_dwordx4 v[2:3], v[6:9], off
	ds_read_b128 v[2:5], v12 offset:10880
	v_add_u32_e32 v6, 0x2a8, v98
	v_mov_b32_e32 v7, v99
	v_lshlrev_b64 v[6:7], 4, v[6:7]
	v_add_co_u32_e32 v10, vcc, v1, v6
	v_addc_co_u32_e32 v11, vcc, v0, v7, vcc
	ds_read_b128 v[6:9], v12 offset:13600
	s_waitcnt lgkmcnt(1)
	global_store_dwordx4 v[10:11], v[2:5], off
	s_nop 0
	v_add_u32_e32 v2, 0x352, v98
	v_mov_b32_e32 v3, v99
	v_lshlrev_b64 v[2:3], 4, v[2:3]
	v_add_co_u32_e32 v2, vcc, v1, v2
	v_addc_co_u32_e32 v3, vcc, v0, v3, vcc
	s_waitcnt lgkmcnt(0)
	global_store_dwordx4 v[2:3], v[6:9], off
	ds_read_b128 v[2:5], v12 offset:16320
	v_add_u32_e32 v6, 0x3fc, v98
	v_mov_b32_e32 v7, v99
	v_lshlrev_b64 v[6:7], 4, v[6:7]
	v_add_co_u32_e32 v10, vcc, v1, v6
	v_addc_co_u32_e32 v11, vcc, v0, v7, vcc
	ds_read_b128 v[6:9], v12 offset:19040
	s_waitcnt lgkmcnt(1)
	global_store_dwordx4 v[10:11], v[2:5], off
	s_nop 0
	v_add_u32_e32 v2, 0x4a6, v98
	v_mov_b32_e32 v3, v99
	v_lshlrev_b64 v[2:3], 4, v[2:3]
	v_add_co_u32_e32 v2, vcc, v1, v2
	v_addc_co_u32_e32 v3, vcc, v0, v3, vcc
	s_waitcnt lgkmcnt(0)
	global_store_dwordx4 v[2:3], v[6:9], off
	ds_read_b128 v[2:5], v12 offset:21760
	v_add_u32_e32 v6, 0x550, v98
	v_mov_b32_e32 v7, v99
	v_lshlrev_b64 v[6:7], 4, v[6:7]
	v_add_co_u32_e32 v10, vcc, v1, v6
	v_addc_co_u32_e32 v11, vcc, v0, v7, vcc
	ds_read_b128 v[6:9], v12 offset:24480
	s_waitcnt lgkmcnt(1)
	global_store_dwordx4 v[10:11], v[2:5], off
	s_nop 0
	v_add_u32_e32 v2, 0x5fa, v98
	v_mov_b32_e32 v3, v99
	v_lshlrev_b64 v[2:3], 4, v[2:3]
	v_add_co_u32_e32 v2, vcc, v1, v2
	v_addc_co_u32_e32 v3, vcc, v0, v3, vcc
	s_waitcnt lgkmcnt(0)
	global_store_dwordx4 v[2:3], v[6:9], off
	ds_read_b128 v[2:5], v12 offset:27200
	v_add_u32_e32 v6, 0x6a4, v98
	v_mov_b32_e32 v7, v99
	v_lshlrev_b64 v[6:7], 4, v[6:7]
	v_add_co_u32_e32 v10, vcc, v1, v6
	v_addc_co_u32_e32 v11, vcc, v0, v7, vcc
	ds_read_b128 v[6:9], v12 offset:29920
	s_waitcnt lgkmcnt(1)
	global_store_dwordx4 v[10:11], v[2:5], off
	s_nop 0
	v_add_u32_e32 v2, 0x74e, v98
	v_mov_b32_e32 v3, v99
	v_lshlrev_b64 v[2:3], 4, v[2:3]
	v_add_co_u32_e32 v2, vcc, v1, v2
	v_addc_co_u32_e32 v3, vcc, v0, v3, vcc
	v_cmp_eq_u32_e32 vcc, s0, v98
	s_waitcnt lgkmcnt(0)
	global_store_dwordx4 v[2:3], v[6:9], off
	s_and_b64 exec, exec, vcc
	s_cbranch_execz .LBB0_26
; %bb.25:
	ds_read_b128 v[2:5], v99 offset:32640
	v_add_co_u32_e32 v6, vcc, 0x7000, v1
	v_addc_co_u32_e32 v7, vcc, 0, v0, vcc
	s_waitcnt lgkmcnt(0)
	global_store_dwordx4 v[6:7], v[2:5], off offset:3968
.LBB0_26:
	s_endpgm
	.section	.rodata,"a",@progbits
	.p2align	6, 0x0
	.amdhsa_kernel fft_rtc_back_len2040_factors_17_4_3_10_wgs_170_tpt_170_halfLds_dp_op_CI_CI_unitstride_sbrr_R2C_dirReg
		.amdhsa_group_segment_fixed_size 0
		.amdhsa_private_segment_fixed_size 452
		.amdhsa_kernarg_size 104
		.amdhsa_user_sgpr_count 6
		.amdhsa_user_sgpr_private_segment_buffer 1
		.amdhsa_user_sgpr_dispatch_ptr 0
		.amdhsa_user_sgpr_queue_ptr 0
		.amdhsa_user_sgpr_kernarg_segment_ptr 1
		.amdhsa_user_sgpr_dispatch_id 0
		.amdhsa_user_sgpr_flat_scratch_init 0
		.amdhsa_user_sgpr_private_segment_size 0
		.amdhsa_uses_dynamic_stack 0
		.amdhsa_system_sgpr_private_segment_wavefront_offset 1
		.amdhsa_system_sgpr_workgroup_id_x 1
		.amdhsa_system_sgpr_workgroup_id_y 0
		.amdhsa_system_sgpr_workgroup_id_z 0
		.amdhsa_system_sgpr_workgroup_info 0
		.amdhsa_system_vgpr_workitem_id 0
		.amdhsa_next_free_vgpr 256
		.amdhsa_next_free_sgpr 64
		.amdhsa_reserve_vcc 1
		.amdhsa_reserve_flat_scratch 0
		.amdhsa_float_round_mode_32 0
		.amdhsa_float_round_mode_16_64 0
		.amdhsa_float_denorm_mode_32 3
		.amdhsa_float_denorm_mode_16_64 3
		.amdhsa_dx10_clamp 1
		.amdhsa_ieee_mode 1
		.amdhsa_fp16_overflow 0
		.amdhsa_exception_fp_ieee_invalid_op 0
		.amdhsa_exception_fp_denorm_src 0
		.amdhsa_exception_fp_ieee_div_zero 0
		.amdhsa_exception_fp_ieee_overflow 0
		.amdhsa_exception_fp_ieee_underflow 0
		.amdhsa_exception_fp_ieee_inexact 0
		.amdhsa_exception_int_div_zero 0
	.end_amdhsa_kernel
	.text
.Lfunc_end0:
	.size	fft_rtc_back_len2040_factors_17_4_3_10_wgs_170_tpt_170_halfLds_dp_op_CI_CI_unitstride_sbrr_R2C_dirReg, .Lfunc_end0-fft_rtc_back_len2040_factors_17_4_3_10_wgs_170_tpt_170_halfLds_dp_op_CI_CI_unitstride_sbrr_R2C_dirReg
                                        ; -- End function
	.section	.AMDGPU.csdata,"",@progbits
; Kernel info:
; codeLenInByte = 18868
; NumSgprs: 68
; NumVgprs: 256
; ScratchSize: 452
; MemoryBound: 0
; FloatMode: 240
; IeeeMode: 1
; LDSByteSize: 0 bytes/workgroup (compile time only)
; SGPRBlocks: 8
; VGPRBlocks: 63
; NumSGPRsForWavesPerEU: 68
; NumVGPRsForWavesPerEU: 256
; Occupancy: 1
; WaveLimiterHint : 1
; COMPUTE_PGM_RSRC2:SCRATCH_EN: 1
; COMPUTE_PGM_RSRC2:USER_SGPR: 6
; COMPUTE_PGM_RSRC2:TRAP_HANDLER: 0
; COMPUTE_PGM_RSRC2:TGID_X_EN: 1
; COMPUTE_PGM_RSRC2:TGID_Y_EN: 0
; COMPUTE_PGM_RSRC2:TGID_Z_EN: 0
; COMPUTE_PGM_RSRC2:TIDIG_COMP_CNT: 0
	.type	__hip_cuid_9cc0c925a6078efa,@object ; @__hip_cuid_9cc0c925a6078efa
	.section	.bss,"aw",@nobits
	.globl	__hip_cuid_9cc0c925a6078efa
__hip_cuid_9cc0c925a6078efa:
	.byte	0                               ; 0x0
	.size	__hip_cuid_9cc0c925a6078efa, 1

	.ident	"AMD clang version 19.0.0git (https://github.com/RadeonOpenCompute/llvm-project roc-6.4.0 25133 c7fe45cf4b819c5991fe208aaa96edf142730f1d)"
	.section	".note.GNU-stack","",@progbits
	.addrsig
	.addrsig_sym __hip_cuid_9cc0c925a6078efa
	.amdgpu_metadata
---
amdhsa.kernels:
  - .args:
      - .actual_access:  read_only
        .address_space:  global
        .offset:         0
        .size:           8
        .value_kind:     global_buffer
      - .offset:         8
        .size:           8
        .value_kind:     by_value
      - .actual_access:  read_only
        .address_space:  global
        .offset:         16
        .size:           8
        .value_kind:     global_buffer
      - .actual_access:  read_only
        .address_space:  global
        .offset:         24
        .size:           8
        .value_kind:     global_buffer
      - .actual_access:  read_only
        .address_space:  global
        .offset:         32
        .size:           8
        .value_kind:     global_buffer
      - .offset:         40
        .size:           8
        .value_kind:     by_value
      - .actual_access:  read_only
        .address_space:  global
        .offset:         48
        .size:           8
        .value_kind:     global_buffer
      - .actual_access:  read_only
        .address_space:  global
        .offset:         56
        .size:           8
        .value_kind:     global_buffer
      - .offset:         64
        .size:           4
        .value_kind:     by_value
      - .actual_access:  read_only
        .address_space:  global
        .offset:         72
        .size:           8
        .value_kind:     global_buffer
      - .actual_access:  read_only
        .address_space:  global
        .offset:         80
        .size:           8
        .value_kind:     global_buffer
      - .actual_access:  read_only
        .address_space:  global
        .offset:         88
        .size:           8
        .value_kind:     global_buffer
      - .actual_access:  write_only
        .address_space:  global
        .offset:         96
        .size:           8
        .value_kind:     global_buffer
    .group_segment_fixed_size: 0
    .kernarg_segment_align: 8
    .kernarg_segment_size: 104
    .language:       OpenCL C
    .language_version:
      - 2
      - 0
    .max_flat_workgroup_size: 170
    .name:           fft_rtc_back_len2040_factors_17_4_3_10_wgs_170_tpt_170_halfLds_dp_op_CI_CI_unitstride_sbrr_R2C_dirReg
    .private_segment_fixed_size: 452
    .sgpr_count:     68
    .sgpr_spill_count: 0
    .symbol:         fft_rtc_back_len2040_factors_17_4_3_10_wgs_170_tpt_170_halfLds_dp_op_CI_CI_unitstride_sbrr_R2C_dirReg.kd
    .uniform_work_group_size: 1
    .uses_dynamic_stack: false
    .vgpr_count:     256
    .vgpr_spill_count: 112
    .wavefront_size: 64
amdhsa.target:   amdgcn-amd-amdhsa--gfx906
amdhsa.version:
  - 1
  - 2
...

	.end_amdgpu_metadata
